;; amdgpu-corpus repo=ROCm/aiter kind=harvested arch=n/a opt=n/a

/root/src/amdgpu-assembly/repos/ROCm__aiter/hsa/gfx950/pa/pa_fp16_pertokenInt8_gqa16_2tg_4w.co:	file format elf64-amdgpu

Disassembly of section .text:

0000000000002100 <_ZN5aiter33pa_fp16_pertokenInt8_gqa16_2tg_4wE>:
	s_and_b32 s1, s1, 0xffff                                   // 000000002100: 8601FF01 0000FFFF
	s_load_dwordx2 s[8:9], s[0:1], 0x0                         // 000000002108: C0060200 00000000
	s_load_dwordx2 s[12:13], s[0:1], 0x10                      // 000000002110: C0060300 00000010
	s_load_dwordx2 s[16:17], s[0:1], 0x20                      // 000000002118: C0060400 00000020
	s_load_dwordx2 s[20:21], s[0:1], 0x30                      // 000000002120: C0060500 00000030
	s_load_dwordx2 s[24:25], s[0:1], 0x40                      // 000000002128: C0060600 00000040
	s_load_dwordx2 s[28:29], s[0:1], 0x50                      // 000000002130: C0060700 00000050
	s_load_dwordx2 s[32:33], s[0:1], 0x60                      // 000000002138: C0060800 00000060
	s_load_dwordx2 s[36:37], s[0:1], 0x70                      // 000000002140: C0060900 00000070
	s_load_dword s64, s[0:1], 0x80                             // 000000002148: C0021000 00000080
	s_load_dword s65, s[0:1], 0x90                             // 000000002150: C0021040 00000090
	s_load_dword s66, s[0:1], 0xa0                             // 000000002158: C0021080 000000A0
	s_load_dword s74, s[0:1], 0xb0                             // 000000002160: C0021280 000000B0
	s_load_dword s68, s[0:1], 0xc0                             // 000000002168: C0021100 000000C0
	s_load_dword s69, s[0:1], 0xd0                             // 000000002170: C0021140 000000D0
	s_load_dword s77, s[0:1], 0xe0                             // 000000002178: C0021340 000000E0
	v_lshrrev_b32_e32 v1, 10, v0                               // 000000002180: 2002008A
	v_lshrrev_b32_e32 v2, 10, v1                               // 000000002184: 2004028A
	v_and_b32_e32 v2, 0x3ff, v2                                // 000000002188: 260404FF 000003FF
	v_and_b32_e32 v1, 0x3ff, v1                                // 000000002190: 260202FF 000003FF
	v_and_b32_e32 v0, 0x3ff, v0                                // 000000002198: 260000FF 000003FF
	v_lshrrev_b32_e32 v3, 6, v0                                // 0000000021A0: 20060086
	v_and_b32_e32 v0, 63, v0                                   // 0000000021A4: 260000BF
	s_mov_b32 s2, s2                                           // 0000000021A8: BE820002
	s_mov_b32 s3, s3                                           // 0000000021AC: BE830003
	s_mov_b32 s4, s4                                           // 0000000021B0: BE840004
	v_readfirstlane_b32 s7, v3                                 // 0000000021B4: 7E0E0503
	s_waitcnt lgkmcnt(0)                                       // 0000000021B8: BF8CC07F
	s_mul_i32 s67, 0x100, s77                                  // 0000000021BC: 92434DFF 00000100
	s_mul_i32 s76, 0x100, s77                                  // 0000000021C4: 924C4DFF 00000100
	s_mul_i32 s75, s66, s76                                    // 0000000021CC: 924B4C42
	s_mul_i32 s60, s3, 4                                       // 0000000021D0: 923C8403
	s_and_b32 s29, s29, 0xffff                                 // 0000000021D4: 861DFF1D 0000FFFF
	s_add_u32 s28, s60, s28                                    // 0000000021DC: 801C1C3C
	s_addc_u32 s29, 0, s29                                     // 0000000021E0: 821D1D80
	s_load_dword s72, s[28:29], 0x0                            // 0000000021E4: C002120E 00000000
	s_mov_b32 s10, s76                                         // 0000000021EC: BE8A004C
	s_mov_b32 s14, s67                                         // 0000000021F0: BE8E0043
	s_mul_i32 s60, 4, s65                                      // 0000000021F4: 923C4184
	s_mov_b32 s26, s60                                         // 0000000021F8: BE9A003C
	s_mov_b32 s34, 0x80000000                                  // 0000000021FC: BEA200FF 80000000
	s_mov_b32 s38, 0x80000000                                  // 000000002204: BEA600FF 80000000
	s_mov_b32 s18, 0x80000000                                  // 00000000220C: BE9200FF 80000000
	s_mov_b32 s22, 0x80000000                                  // 000000002214: BE9600FF 80000000
	s_mov_b32 s11, 0x20000                                     // 00000000221C: BE8B00FF 00020000
	s_mov_b32 s15, 0x20000                                     // 000000002224: BE8F00FF 00020000
	s_mov_b32 s19, 0x20000                                     // 00000000222C: BE9300FF 00020000
	s_mov_b32 s23, 0x20000                                     // 000000002234: BE9700FF 00020000
	s_mov_b32 s27, 0x20000                                     // 00000000223C: BE9B00FF 00020000
	s_mov_b32 s35, 0x20000                                     // 000000002244: BEA300FF 00020000
	s_mov_b32 s39, 0x20000                                     // 00000000224C: BEA700FF 00020000
	s_and_b32 s9, s9, 0xffff                                   // 000000002254: 8609FF09 0000FFFF
	s_and_b32 s13, s13, 0xffff                                 // 00000000225C: 860DFF0D 0000FFFF
	s_and_b32 s17, s17, 0xffff                                 // 000000002264: 8611FF11 0000FFFF
	s_and_b32 s21, s21, 0xffff                                 // 00000000226C: 8615FF15 0000FFFF
	s_and_b32 s25, s25, 0xffff                                 // 000000002274: 8619FF19 0000FFFF
	s_and_b32 s33, s33, 0xffff                                 // 00000000227C: 8621FF21 0000FFFF
	s_and_b32 s37, s37, 0xffff                                 // 000000002284: 8625FF25 0000FFFF
	s_or_b32 s9, s9, 0x40000                                   // 00000000228C: 8709FF09 00040000
	s_or_b32 s13, s13, 0x40000                                 // 000000002294: 870DFF0D 00040000
	s_or_b32 s17, s17, 0x40000                                 // 00000000229C: 8711FF11 00040000
	s_or_b32 s21, s21, 0x40000                                 // 0000000022A4: 8715FF15 00040000
	s_or_b32 s25, s25, 0x40000                                 // 0000000022AC: 8719FF19 00040000
	s_or_b32 s33, s33, 0x40000                                 // 0000000022B4: 8721FF21 00040000
	s_or_b32 s37, s37, 0x40000                                 // 0000000022BC: 8725FF25 00040000
	v_mov_b32_e32 v127, 0                                      // 0000000022C4: 7EFE0280
	s_mul_i32 s60, s3, s65                                     // 0000000022C8: 923C4103
	s_mul_i32 s60, s60, 4                                      // 0000000022CC: 923C843C
	s_add_u32 s24, s60, s24                                    // 0000000022D0: 8018183C
	s_addc_u32 s25, 0, s25                                     // 0000000022D4: 82191980
	s_mov_b32 s56, 64                                          // 0000000022D8: BEB800C0
	s_waitcnt lgkmcnt(0)                                       // 0000000022DC: BF8CC07F
	s_add_u32 s73, s72, 15                                     // 0000000022E0: 80498F48
	s_lshr_b32 s73, s73, 4                                     // 0000000022E4: 8F498449
	s_mul_i32 s60, s73, 4                                      // 0000000022E8: 923C8449
	s_mov_b32 s26, s60                                         // 0000000022EC: BE9A003C
	v_and_b32_e32 v39, 3, v0                                   // 0000000022F0: 264E0083
	v_cmp_eq_u32_e64 s[60:61], 0, v39                          // 0000000022F4: D0CA003C 00024E80
	v_and_b32_e32 v38, 12, v0                                  // 0000000022FC: 264C008C
	v_add_u32_e32 v1, s7, v38                                  // 000000002300: 68024C07
	v_cndmask_b32_e64 v1, 0, v1, s[60:61]                      // 000000002304: D1000001 00F20280
	v_and_b32_e32 v39, 3, v0                                   // 00000000230C: 264E0083
	v_cmp_eq_u32_e64 s[60:61], 1, v39                          // 000000002310: D0CA003C 00024E81
	v_lshrrev_b32_e32 v38, 4, v0                               // 000000002318: 204C0084
	v_and_b32_e32 v39, 12, v0                                  // 00000000231C: 264E008C
	v_add_u32_e32 v38, v39, v38                                // 000000002320: 684C4D27
	v_cndmask_b32_e64 v38, 0, v38, s[60:61]                    // 000000002324: D1000026 00F24C80
	v_add_u32_e32 v1, v1, v38                                  // 00000000232C: 68024D01
	v_lshlrev_b32_e32 v1, 2, v1                                // 000000002330: 24020282
	buffer_load_dword v16, v1, s[24:27], 0 offen               // 000000002334: E0501000 80061001
	v_add_u32_e32 v1, s56, v1                                  // 00000000233C: 68020238
	buffer_load_dword v17, v1, s[24:27], 0 offen               // 000000002340: E0501000 80061101
	s_cmp_le_u32 s73, 32                                       // 000000002348: BF0BA049
	s_cselect_b32 s56, 0, s56                                  // 00000000234C: 85383880
	s_mul_i32 s60, s2, s67                                     // 000000002350: 923C4302
	s_mul_i32 s61, s3, s74                                     // 000000002354: 923D4A03
	s_add_u32 s60, s60, s61                                    // 000000002358: 803C3D3C
	s_add_u32 s12, s60, s12                                    // 00000000235C: 800C0C3C
	s_addc_u32 s13, 0, s13                                     // 000000002360: 820D0D80
	s_mul_i32 s60, s7, 0x108                                   // 000000002364: 923CFF07 00000108
	s_add_u32 m0, 0, s60                                       // 00000000236C: 807C3C80
	s_mul_i32 s60, s7, 0x100                                   // 000000002370: 923CFF07 00000100
	v_lshlrev_b32_e32 v38, 2, v0                               // 000000002378: 244C0082
	v_add_u32_e64 v38, v38, s60                                // 00000000237C: D1340026 00007926
	buffer_load_dword v38, s[12:15], 0 offen lds               // 000000002384: E0511000 80030026
	s_mul_i32 s60, 4, 0x108                                    // 00000000238C: 923CFF84 00000108
	s_add_u32 m0, m0, s60                                      // 000000002394: 807C3C7C
	v_add_u32_e32 v38, 0x400, v38                              // 000000002398: 684C4CFF 00000400
	buffer_load_dword v38, s[12:15], 0 offen lds               // 0000000023A0: E0511000 80030026
	s_mul_i32 s60, 4, 0x108                                    // 0000000023A8: 923CFF84 00000108
	s_add_u32 m0, m0, s60                                      // 0000000023B0: 807C3C7C
	v_add_u32_e32 v38, 0x400, v38                              // 0000000023B4: 684C4CFF 00000400
	buffer_load_dword v38, s[12:15], 0 offen lds               // 0000000023BC: E0511000 80030026
	s_mul_i32 s60, 4, 0x108                                    // 0000000023C4: 923CFF84 00000108
	s_add_u32 m0, m0, s60                                      // 0000000023CC: 807C3C7C
	v_add_u32_e32 v38, 0x400, v38                              // 0000000023D0: 684C4CFF 00000400
	buffer_load_dword v38, s[12:15], 0 offen lds               // 0000000023D8: E0511000 80030026
	s_mul_i32 s60, 4, 0x108                                    // 0000000023E0: 923CFF84 00000108
	s_add_u32 m0, m0, s60                                      // 0000000023E8: 807C3C7C
	v_add_u32_e32 v38, 0x400, v38                              // 0000000023EC: 684C4CFF 00000400
	v_lshrrev_b32_e32 v38, 4, v0                               // 0000000023F4: 204C0084
	v_lshlrev_b32_e32 v38, 2, v38                              // 0000000023F8: 244C4C82
	v_and_b32_e32 v39, 3, v0                                   // 0000000023FC: 264E0083
	v_add_u32_e32 v38, v39, v38                                // 000000002400: 684C4D27
	v_lshlrev_b32_e32 v59, 2, v38                              // 000000002404: 24764C82
	v_mov_b32_e32 v60, v59                                     // 000000002408: 7E78033B
	s_mul_i32 s60, s2, 64                                      // 00000000240C: 923CC002
	s_add_u32 s32, s60, s32                                    // 000000002410: 8020203C
	s_addc_u32 s33, 0, s33                                     // 000000002414: 82212180
	s_add_u32 s36, s60, s36                                    // 000000002418: 8024243C
	s_addc_u32 s37, 0, s37                                     // 00000000241C: 82252580
	s_mul_i32 s60, s2, s76                                     // 000000002420: 923C4C02
	s_mul_i32 s61, s3, s75                                     // 000000002424: 923D4B03
	s_add_u32 s60, s60, s61                                    // 000000002428: 803C3D3C
	s_add_u32 s8, s60, s8                                      // 00000000242C: 8008083C
	s_addc_u32 s9, 0, s9                                       // 000000002430: 82090980
	s_mul_i32 s60, s7, 0x100                                   // 000000002434: 923CFF07 00000100
	v_lshlrev_b32_e32 v8, 2, v0                                // 00000000243C: 24100082
	v_add_u32_e64 v8, v8, s60                                  // 000000002440: D1340008 00007908
	s_mov_b32 s70, 0                                           // 000000002448: BEC60080
	s_and_b32 s71, s72, 0xffffff00                             // 00000000244C: 8647FF48 FFFFFF00
	s_mov_b32 s42, 0xff00ff00                                  // 000000002454: BEAA00FF FF00FF00
	s_mov_b32 s43, 0xff00ff00                                  // 00000000245C: BEAB00FF FF00FF00
	s_mov_b32 s44, 0xf0f0f0f0                                  // 000000002464: BEAC00FF F0F0F0F0
	s_mov_b32 s45, 0xf0f0f0f0                                  // 00000000246C: BEAD00FF F0F0F0F0
	s_mov_b32 s78, 0xff00ff                                    // 000000002474: BECE00FF 00FF00FF
	s_mov_b32 s79, 0xff00ff                                    // 00000000247C: BECF00FF 00FF00FF
	v_mul_i32_i24_e64 v63, 64, s66                             // 000000002484: D106003F 000084C0
	v_mov_b32_e32 v53, s68                                     // 00000000248C: 7E6A0244
	v_mov_b32_e32 v9, -1                                       // 000000002490: 7E1202C1
	s_mov_b32 s52, 0x7060302                                   // 000000002494: BEB400FF 07060302
	s_mov_b32 s53, 0x400                                       // 00000000249C: BEB500FF 00000400
	s_mov_b32 s54, 0x40100                                     // 0000000024A4: BEB600FF 00040100
	s_mov_b32 s55, 0x4020100                                   // 0000000024AC: BEB700FF 04020100
	v_mov_b32_dpp v9, v9 row_shl:8 row_mask:0xf bank_mask:0xf bound_ctrl:1// 0000000024B4: 7E1202FA FF090809
	s_mov_b32 s6, 0x3fb8aa3b                                   // 0000000024BC: BE8600FF 3FB8AA3B
	v_mov_b32_e32 v14, 0xff800000                              // 0000000024C4: 7E1C02FF FF800000
	v_mov_b32_e32 v54, 0xff800000                              // 0000000024CC: 7E6C02FF FF800000
	v_mov_b32_e32 v51, 0                                       // 0000000024D4: 7E660280
	v_mov_b32_e32 v44, 0                                       // 0000000024D8: 7E580280
	v_mov_b32_e32 v49, 0                                       // 0000000024DC: 7E620280
	v_mov_b32_e32 v19, 0xffff0000                              // 0000000024E0: 7E2602FF FFFF0000
	v_mov_b32_e32 v20, 0x7fff0000                              // 0000000024E8: 7E2802FF 7FFF0000
	v_mov_b32_e32 v21, 0x7fff                                  // 0000000024F0: 7E2A02FF 00007FFF
	v_add_u32_e32 v1, s56, v1                                  // 0000000024F8: 68020238
	v_and_b32_e32 v10, 15, v0                                  // 0000000024FC: 2614008F
	v_lshlrev_b32_e32 v10, 2, v10                              // 000000002500: 24141482
	v_lshlrev_b32_e32 v11, 2, v0                               // 000000002504: 24160082
	s_mul_i32 s60, 0x100, s7                                   // 000000002508: 923C07FF 00000100
	v_add_u32_e32 v11, s60, v11                                // 000000002510: 6816163C
	v_lshrrev_b32_e32 v38, 4, v0                               // 000000002514: 204C0084
	v_lshlrev_b32_e32 v39, 6, v38                              // 000000002518: 244E4C86
	v_and_b32_e32 v38, 15, v0                                  // 00000000251C: 264C008F
	v_lshlrev_b32_e32 v38, 1, v38                              // 000000002520: 244C4C81
	v_add_u32_e32 v39, v38, v39                                // 000000002524: 684E4F26
	v_lshlrev_b32_e32 v12, 2, v39                              // 000000002528: 24184E82
	v_lshrrev_b32_e32 v38, 5, v0                               // 00000000252C: 204C0085
	v_lshlrev_b32_e32 v39, 5, v38                              // 000000002530: 244E4C85
	v_and_b32_e32 v38, 31, v0                                  // 000000002534: 264C009F
	v_lshrrev_b32_e32 v40, 4, v38                              // 000000002538: 20504C84
	v_add_u32_e32 v39, v40, v39                                // 00000000253C: 684E4F28
	v_and_b32_e32 v38, 15, v0                                  // 000000002540: 264C008F
	v_lshlrev_b32_e32 v38, 1, v38                              // 000000002544: 244C4C81
	v_add_u32_e32 v39, v38, v39                                // 000000002548: 684E4F26
	v_lshlrev_b32_e32 v38, 2, v39                              // 00000000254C: 244C4E82
	s_mul_i32 s60, 0x100, s7                                   // 000000002550: 923C07FF 00000100
	v_add_u32_e64 v13, v38, s60                                // 000000002558: D134000D 00007926
	v_lshlrev_b32_e32 v6, 4, v0                                // 000000002560: 240C0084
	s_mul_i32 s60, s2, s69                                     // 000000002564: 923C4502
	s_add_u32 s16, s60, s16                                    // 000000002568: 8010103C
	s_addc_u32 s17, 0, s17                                     // 00000000256C: 82111180
	v_and_b32_e32 v38, 15, v0                                  // 000000002570: 264C008F
	v_lshlrev_b32_e32 v7, 4, v38                               // 000000002574: 240E4C84
	s_mul_i32 s61, s2, s69                                     // 000000002578: 923D4502
	s_mul_i32 s60, s7, 0x100                                   // 00000000257C: 923CFF07 00000100
	s_add_u32 s60, s60, s61                                    // 000000002584: 803C3D3C
	s_add_u32 s20, s60, s20                                    // 000000002588: 8014143C
	s_addc_u32 s21, 0, s21                                     // 00000000258C: 82151580
	s_waitcnt vmcnt(4)                                         // 000000002590: BF8C0F74
	v_mul_u32_u24_dpp v38, v16, v53 row_newbcast:0 row_mask:0xf bank_mask:0xf// 000000002594: 104C6AFA FF015010
	v_mul_u32_u24_dpp v39, v16, v53 row_newbcast:4 row_mask:0xf bank_mask:0xf// 00000000259C: 104E6AFA FF015410
	v_mul_u32_u24_dpp v40, v16, v53 row_newbcast:8 row_mask:0xf bank_mask:0xf// 0000000025A4: 10506AFA FF015810
	v_mul_u32_u24_dpp v41, v16, v53 row_newbcast:12 row_mask:0xf bank_mask:0xf// 0000000025AC: 10526AFA FF015C10
	v_add_u32_e32 v22, v38, v6                                 // 0000000025B4: 682C0D26
	v_add_u32_e32 v23, v39, v6                                 // 0000000025B8: 682E0D27
	v_add_u32_e32 v24, v40, v6                                 // 0000000025BC: 68300D28
	v_add_u32_e32 v25, v41, v6                                 // 0000000025C0: 68320D29
	v_mul_u32_u24_dpp v38, v16, v53 row_newbcast:1 row_mask:0xf bank_mask:0xf// 0000000025C4: 104C6AFA FF015110
	v_mul_u32_u24_dpp v39, v16, v53 row_newbcast:5 row_mask:0xf bank_mask:0xf// 0000000025CC: 104E6AFA FF015510
	v_mul_u32_u24_dpp v40, v16, v53 row_newbcast:9 row_mask:0xf bank_mask:0xf// 0000000025D4: 10506AFA FF015910
	v_mul_u32_u24_dpp v41, v16, v53 row_newbcast:13 row_mask:0xf bank_mask:0xf// 0000000025DC: 10526AFA FF015D10
	v_add_u32_e32 v30, v38, v7                                 // 0000000025E4: 683C0F26
	v_add_u32_e32 v31, v39, v7                                 // 0000000025E8: 683E0F27
	v_add_u32_e32 v32, v40, v7                                 // 0000000025EC: 68400F28
	v_add_u32_e32 v33, v41, v7                                 // 0000000025F0: 68420F29
	v_mul_u32_u24_dpp v38, v16, v63 quad_perm:[0,0,0,0] row_mask:0xf bank_mask:0xf// 0000000025F4: 104C7EFA FF000010
	v_add_u32_e32 v2, v38, v59                                 // 0000000025FC: 68047726
	v_mul_u32_u24_dpp v38, v16, v63 quad_perm:[0,0,0,0] row_mask:0xf bank_mask:0xf// 000000002600: 104C7EFA FF000010
	v_add_u32_e32 v55, v38, v60                                // 000000002608: 686E7926
	buffer_load_dword v46, v2, s[32:35], 0 offen               // 00000000260C: E0501000 80082E02
	buffer_load_dwordx4 v[128:131], v22, s[16:19], 0 offen     // 000000002614: E05C1000 80048016
	buffer_load_dwordx4 v[132:135], v22, s[16:19], 0 offen offset:1024// 00000000261C: E05C1400 80048416
	buffer_load_dwordx4 v[136:139], v23, s[16:19], 0 offen     // 000000002624: E05C1000 80048817
	buffer_load_dwordx4 v[140:143], v23, s[16:19], 0 offen offset:1024// 00000000262C: E05C1400 80048C17
	buffer_load_dwordx4 v[144:147], v24, s[16:19], 0 offen     // 000000002634: E05C1000 80049018
	buffer_load_dwordx4 v[148:151], v24, s[16:19], 0 offen offset:1024// 00000000263C: E05C1400 80049418
	buffer_load_dwordx4 v[152:155], v25, s[16:19], 0 offen     // 000000002644: E05C1000 80049819
	buffer_load_dwordx4 v[156:159], v25, s[16:19], 0 offen offset:1024// 00000000264C: E05C1400 80049C19
	buffer_load_dword v57, v55, s[36:39], 0 offen              // 000000002654: E0501000 80093937
	buffer_load_dwordx4 v[192:195], v30, s[20:23], 0 offen     // 00000000265C: E05C1000 8005C01E
	buffer_load_dwordx4 v[196:199], v31, s[20:23], 0 offen     // 000000002664: E05C1000 8005C41F
	buffer_load_dwordx4 v[200:203], v32, s[20:23], 0 offen     // 00000000266C: E05C1000 8005C820
	buffer_load_dwordx4 v[204:207], v33, s[20:23], 0 offen     // 000000002674: E05C1000 8005CC21
	buffer_load_dwordx4 v[208:211], v30, s[20:23], 0 offen offset:1024// 00000000267C: E05C1400 8005D01E
	buffer_load_dwordx4 v[212:215], v31, s[20:23], 0 offen offset:1024// 000000002684: E05C1400 8005D41F
	buffer_load_dwordx4 v[216:219], v32, s[20:23], 0 offen offset:1024// 00000000268C: E05C1400 8005D820
	buffer_load_dwordx4 v[220:223], v33, s[20:23], 0 offen offset:1024// 000000002694: E05C1400 8005DC21
	v_lshrrev_b32_e32 v38, 4, v0                               // 00000000269C: 204C0084
	v_lshlrev_b32_e32 v39, 1, v38                              // 0000000026A0: 244E4C81
	v_and_b32_e32 v38, 15, v0                                  // 0000000026A4: 264C008F
	v_mul_i32_i24_e32 v38, 0x42, v38                           // 0000000026A8: 0C4C4CFF 00000042
	v_add_u32_e32 v39, v38, v39                                // 0000000026B0: 684E4F26
	v_lshlrev_b32_e32 v4, 2, v39                               // 0000000026B4: 24084E82
	s_mul_i32 s60, s7, 32                                      // 0000000026B8: 923CA007
	v_add_u32_e32 v4, s60, v4                                  // 0000000026BC: 6808083C
	s_waitcnt vmcnt(16) lgkmcnt(0)                             // 0000000026C0: BF8C4070
	s_barrier                                                  // 0000000026C4: BF8A0000
	ds_read_b64 v[80:81], v4                                   // 0000000026C8: D8EC0000 50000004
	ds_read_b64 v[84:85], v4 offset:128                        // 0000000026D0: D8EC0080 54000004
	s_waitcnt lgkmcnt(0)                                       // 0000000026D8: BF8CC07F
	v_and_b32_e32 v38, 0xffff, v80                             // 0000000026DC: 264CA0FF 0000FFFF
	v_lshrrev_b32_e32 v39, 16, v80                             // 0000000026E4: 204EA090
	v_and_b32_e32 v40, 0xffff, v81                             // 0000000026E8: 2650A2FF 0000FFFF
	v_lshrrev_b32_e32 v41, 16, v81                             // 0000000026F0: 2052A290
	v_cvt_f32_f16_e32 v80, v38                                 // 0000000026F4: 7EA01726
	v_cvt_f32_f16_e32 v81, v39                                 // 0000000026F8: 7EA21727
	v_cvt_f32_f16_e32 v82, v40                                 // 0000000026FC: 7EA41728
	v_cvt_f32_f16_e32 v83, v41                                 // 000000002700: 7EA61729
	v_and_b32_e32 v38, 0xffff, v84                             // 000000002704: 264CA8FF 0000FFFF
	v_lshrrev_b32_e32 v39, 16, v84                             // 00000000270C: 204EA890
	v_and_b32_e32 v40, 0xffff, v85                             // 000000002710: 2650AAFF 0000FFFF
	v_lshrrev_b32_e32 v41, 16, v85                             // 000000002718: 2052AA90
	v_cvt_f32_f16_e32 v84, v38                                 // 00000000271C: 7EA81726
	v_cvt_f32_f16_e32 v85, v39                                 // 000000002720: 7EAA1727
	v_cvt_f32_f16_e32 v86, v40                                 // 000000002724: 7EAC1728
	v_cvt_f32_f16_e32 v87, v41                                 // 000000002728: 7EAE1729
	v_mov_b32_e32 v50, 0x358637bd                              // 00000000272C: 7E6402FF 358637BD
	v_max3_f32 v50, |v80|, |v81|, v50                          // 000000002734: D1D30332 04CAA350
	v_max3_f32 v50, |v82|, |v83|, v50                          // 00000000273C: D1D30332 04CAA752
	v_max3_f32 v50, |v84|, |v85|, v50                          // 000000002744: D1D30332 04CAAB54
	v_max3_f32 v50, |v86|, |v87|, v50                          // 00000000274C: D1D30332 04CAAF56
	ds_write_b32 v11, v50 offset:4224                          // 000000002754: D81A1080 0000320B
	s_waitcnt lgkmcnt(0)                                       // 00000000275C: BF8CC07F
	s_barrier                                                  // 000000002760: BF8A0000
	ds_read_b32 v64, v10 offset:4224                           // 000000002764: D86C1080 4000000A
	ds_read_b32 v65, v10 offset:4288                           // 00000000276C: D86C10C0 4100000A
	ds_read_b32 v66, v10 offset:4352                           // 000000002774: D86C1100 4200000A
	ds_read_b32 v67, v10 offset:4416                           // 00000000277C: D86C1140 4300000A
	ds_read_b32 v68, v10 offset:4480                           // 000000002784: D86C1180 4400000A
	ds_read_b32 v69, v10 offset:4544                           // 00000000278C: D86C11C0 4500000A
	ds_read_b32 v70, v10 offset:4608                           // 000000002794: D86C1200 4600000A
	ds_read_b32 v71, v10 offset:4672                           // 00000000279C: D86C1240 4700000A
	ds_read_b32 v72, v10 offset:4736                           // 0000000027A4: D86C1280 4800000A
	ds_read_b32 v73, v10 offset:4800                           // 0000000027AC: D86C12C0 4900000A
	ds_read_b32 v74, v10 offset:4864                           // 0000000027B4: D86C1300 4A00000A
	ds_read_b32 v75, v10 offset:4928                           // 0000000027BC: D86C1340 4B00000A
	ds_read_b32 v76, v10 offset:4992                           // 0000000027C4: D86C1380 4C00000A
	ds_read_b32 v77, v10 offset:5056                           // 0000000027CC: D86C13C0 4D00000A
	ds_read_b32 v78, v10 offset:5120                           // 0000000027D4: D86C1400 4E00000A
	ds_read_b32 v79, v10 offset:5184                           // 0000000027DC: D86C1440 4F00000A
	s_waitcnt lgkmcnt(0)                                       // 0000000027E4: BF8CC07F
	v_max3_f32 v50, |v64|, |v65|, v50                          // 0000000027E8: D1D30332 04CA8340
	v_max3_f32 v50, |v66|, |v67|, v50                          // 0000000027F0: D1D30332 04CA8742
	v_max3_f32 v50, |v68|, |v69|, v50                          // 0000000027F8: D1D30332 04CA8B44
	v_max3_f32 v50, |v70|, |v71|, v50                          // 000000002800: D1D30332 04CA8F46
	v_max3_f32 v50, |v72|, |v73|, v50                          // 000000002808: D1D30332 04CA9348
	v_max3_f32 v50, |v74|, |v75|, v50                          // 000000002810: D1D30332 04CA974A
	v_max3_f32 v50, |v76|, |v77|, v50                          // 000000002818: D1D30332 04CA9B4C
	v_max3_f32 v50, |v78|, |v79|, v50                          // 000000002820: D1D30332 04CA9F4E
	v_rcp_f32_e32 v50, v50                                     // 000000002828: 7E644532
	s_nop 1                                                    // 00000000282C: BF800001
	v_mul_f32_e32 v50, 0x42fe0000, v50                         // 000000002830: 0A6464FF 42FE0000
	v_mul_f32_e32 v80, v50, v80                                // 000000002838: 0AA0A132
	v_mul_f32_e32 v81, v50, v81                                // 00000000283C: 0AA2A332
	v_mul_f32_e32 v82, v50, v82                                // 000000002840: 0AA4A532
	v_mul_f32_e32 v83, v50, v83                                // 000000002844: 0AA6A732
	v_mul_f32_e32 v84, v50, v84                                // 000000002848: 0AA8A932
	v_mul_f32_e32 v85, v50, v85                                // 00000000284C: 0AAAAB32
	v_mul_f32_e32 v86, v50, v86                                // 000000002850: 0AACAD32
	v_mul_f32_e32 v87, v50, v87                                // 000000002854: 0AAEAF32
	v_cvt_i32_f32_e32 v80, v80                                 // 000000002858: 7EA01150
	v_cvt_i32_f32_e32 v81, v81                                 // 00000000285C: 7EA21151
	v_cvt_i32_f32_e32 v82, v82                                 // 000000002860: 7EA41152
	v_cvt_i32_f32_e32 v83, v83                                 // 000000002864: 7EA61153
	v_cvt_i32_f32_e32 v84, v84                                 // 000000002868: 7EA81154
	v_cvt_i32_f32_e32 v85, v85                                 // 00000000286C: 7EAA1155
	v_cvt_i32_f32_e32 v86, v86                                 // 000000002870: 7EAC1156
	v_cvt_i32_f32_e32 v87, v87                                 // 000000002874: 7EAE1157
	v_rcp_f32_e32 v48, v50                                     // 000000002878: 7E604532
	v_perm_b32 v80, v81, v80, s53                              // 00000000287C: D1ED0050 00D6A151
	v_perm_b32 v80, v82, v80, s54                              // 000000002884: D1ED0050 00DAA152
	v_perm_b32 v80, v83, v80, s55                              // 00000000288C: D1ED0050 00DEA153
	v_perm_b32 v81, v85, v84, s53                              // 000000002894: D1ED0051 00D6A955
	v_perm_b32 v81, v86, v81, s54                              // 00000000289C: D1ED0051 00DAA356
	v_perm_b32 v81, v87, v81, s55                              // 0000000028A4: D1ED0051 00DEA357
	ds_write_b32 v13, v80 offset:6272                          // 0000000028AC: D81A1880 0000500D
	ds_write_b32 v13, v81 offset:7296                          // 0000000028B4: D81A1C80 0000510D
	s_waitcnt lgkmcnt(0)                                       // 0000000028BC: BF8CC07F
	s_barrier                                                  // 0000000028C0: BF8A0000
	ds_read_b64 v[80:81], v12 offset:6272                      // 0000000028C4: D8EC1880 5000000C
	ds_read_b64 v[82:83], v12 offset:6400                      // 0000000028CC: D8EC1900 5200000C
	ds_read_b64 v[84:85], v12 offset:7296                      // 0000000028D4: D8EC1C80 5400000C
	ds_read_b64 v[86:87], v12 offset:7424                      // 0000000028DC: D8EC1D00 5600000C
	v_mov_b32_e32 v112, 0                                      // 0000000028E4: 7EE00280
	v_mov_b32_e32 v113, 0                                      // 0000000028E8: 7EE20280
	v_mov_b32_e32 v114, 0                                      // 0000000028EC: 7EE40280
	v_mov_b32_e32 v115, 0                                      // 0000000028F0: 7EE60280
	v_mov_b32_e32 v116, 0                                      // 0000000028F4: 7EE80280
	v_mov_b32_e32 v117, 0                                      // 0000000028F8: 7EEA0280
	v_mov_b32_e32 v118, 0                                      // 0000000028FC: 7EEC0280
	v_mov_b32_e32 v119, 0                                      // 000000002900: 7EEE0280
	v_mov_b32_e32 v104, 0                                      // 000000002904: 7ED00280
	v_mov_b32_e32 v105, 0                                      // 000000002908: 7ED20280
	v_mov_b32_e32 v106, 0                                      // 00000000290C: 7ED40280
	v_mov_b32_e32 v107, 0                                      // 000000002910: 7ED60280
	v_mov_b32_e32 v108, 0                                      // 000000002914: 7ED80280
	v_mov_b32_e32 v109, 0                                      // 000000002918: 7EDA0280
	v_mov_b32_e32 v110, 0                                      // 00000000291C: 7EDC0280
	v_mov_b32_e32 v111, 0                                      // 000000002920: 7EDE0280
	s_waitcnt vmcnt(8) lgkmcnt(0)                              // 000000002924: BF8C0078
	s_barrier                                                  // 000000002928: BF8A0000
	s_cmp_lt_u32 s73, 16                                       // 00000000292C: BF0A9049
	s_cbranch_scc1 label_0C04                                  // 000000002930: BF8509F7
	s_cmp_lt_i32 s7, 2                                         // 000000002934: BF048207
	s_cbranch_scc0 label_070B                                  // 000000002938: BF8404FC

000000000000293c <label_020F>:
	s_waitcnt vmcnt(8) lgkmcnt(0)                              // 00000000293C: BF8C0078
	v_mul_u32_u24_dpp v38, v17, v53 row_newbcast:0 row_mask:0xf bank_mask:0xf// 000000002940: 104C6AFA FF015011
	v_mul_u32_u24_dpp v39, v17, v53 row_newbcast:4 row_mask:0xf bank_mask:0xf// 000000002948: 104E6AFA FF015411
	v_mul_u32_u24_dpp v40, v17, v53 row_newbcast:8 row_mask:0xf bank_mask:0xf// 000000002950: 10506AFA FF015811
	v_mul_u32_u24_dpp v41, v17, v53 row_newbcast:12 row_mask:0xf bank_mask:0xf// 000000002958: 10526AFA FF015C11
	v_add_u32_e32 v26, v38, v6                                 // 000000002960: 68340D26
	v_add_u32_e32 v27, v39, v6                                 // 000000002964: 68360D27
	v_add_u32_e32 v28, v40, v6                                 // 000000002968: 68380D28
	v_add_u32_e32 v29, v41, v6                                 // 00000000296C: 683A0D29
	v_mul_u32_u24_dpp v38, v17, v63 quad_perm:[0,0,0,0] row_mask:0xf bank_mask:0xf// 000000002970: 104C7EFA FF000011
	v_add_u32_e32 v3, v38, v59                                 // 000000002978: 68067726
	v_mul_u32_u24_dpp v38, v17, v63 quad_perm:[0,0,0,0] row_mask:0xf bank_mask:0xf// 00000000297C: 104C7EFA FF000011
	v_add_u32_e32 v56, v38, v60                                // 000000002984: 68707926
	v_mfma_i32_16x16x32_i8 v[88:91], v[128:129], v[80:81], 0   // 000000002988: D3D70058 0202A180
	v_mfma_i32_16x16x32_i8 v[88:91], v[130:131], v[82:83], v[88:91]// 000000002990: D3D70058 0562A582
	buffer_load_dwordx4 v[160:163], v26, s[16:19], 0 offen     // 000000002998: E05C1000 8004A01A
	v_mfma_i32_16x16x32_i8 v[88:91], v[132:133], v[84:85], v[88:91]// 0000000029A0: D3D70058 0562A984
	v_mfma_i32_16x16x32_i8 v[88:91], v[134:135], v[86:87], v[88:91]// 0000000029A8: D3D70058 0562AD86
	buffer_load_dword v16, v1, s[24:27], 0 offen               // 0000000029B0: E0501000 80061001
	v_mfma_i32_16x16x32_i8 v[92:95], v[136:137], v[80:81], 0   // 0000000029B8: D3D7005C 0202A188
	v_mfma_i32_16x16x32_i8 v[92:95], v[138:139], v[82:83], v[92:95]// 0000000029C0: D3D7005C 0572A58A
	buffer_load_dwordx4 v[164:167], v26, s[16:19], 0 offen offset:1024// 0000000029C8: E05C1400 8004A41A
	v_mfma_i32_16x16x32_i8 v[92:95], v[140:141], v[84:85], v[92:95]// 0000000029D0: D3D7005C 0572A98C
	v_mfma_i32_16x16x32_i8 v[92:95], v[142:143], v[86:87], v[92:95]// 0000000029D8: D3D7005C 0572AD8E
	v_mfma_i32_16x16x32_i8 v[96:99], v[144:145], v[80:81], 0   // 0000000029E0: D3D70060 0202A190
	v_mfma_i32_16x16x32_i8 v[96:99], v[146:147], v[82:83], v[96:99]// 0000000029E8: D3D70060 0582A592
	buffer_load_dwordx4 v[168:171], v27, s[16:19], 0 offen     // 0000000029F0: E05C1000 8004A81B
	v_mfma_i32_16x16x32_i8 v[96:99], v[148:149], v[84:85], v[96:99]// 0000000029F8: D3D70060 0582A994
	v_mfma_i32_16x16x32_i8 v[96:99], v[150:151], v[86:87], v[96:99]// 000000002A00: D3D70060 0582AD96
	v_mfma_i32_16x16x32_i8 v[100:103], v[152:153], v[80:81], 0 // 000000002A08: D3D70064 0202A198
	v_mfma_i32_16x16x32_i8 v[100:103], v[154:155], v[82:83], v[100:103]// 000000002A10: D3D70064 0592A59A
	buffer_load_dwordx4 v[172:175], v27, s[16:19], 0 offen offset:1024// 000000002A18: E05C1400 8004AC1B
	v_mfma_i32_16x16x32_i8 v[100:103], v[156:157], v[84:85], v[100:103]// 000000002A20: D3D70064 0592A99C
	v_mfma_i32_16x16x32_i8 v[100:103], v[158:159], v[86:87], v[100:103]// 000000002A28: D3D70064 0592AD9E
	buffer_load_dword v47, v3, s[32:35], 0 offen               // 000000002A30: E0501000 80082F03
	v_mov_b32_dpp v38, v46 row_shr:4 row_mask:0xf bank_mask:0xf// 000000002A38: 7E4C02FA FF01142E
	v_mov_b32_dpp v39, v46 row_shl:4 row_mask:0xf bank_mask:0xf// 000000002A40: 7E4E02FA FF01042E
	v_cndmask_b32_e64 v120, v46, v38, s[44:45]                 // 000000002A48: D1000078 00B24D2E
	v_cndmask_b32_e64 v121, v39, v46, s[44:45]                 // 000000002A50: D1000079 00B25D27
	v_mov_b32_dpp v38, v120 row_shr:8 row_mask:0xf bank_mask:0xf// 000000002A58: 7E4C02FA FF011878
	v_mov_b32_dpp v39, v120 row_shl:8 row_mask:0xf bank_mask:0xf// 000000002A60: 7E4E02FA FF010878
	v_mov_b32_dpp v40, v121 row_shr:8 row_mask:0xf bank_mask:0xf// 000000002A68: 7E5002FA FF011879
	v_mov_b32_dpp v41, v121 row_shl:8 row_mask:0xf bank_mask:0xf// 000000002A70: 7E5202FA FF010879
	v_mov_b32_e32 v42, v120                                    // 000000002A78: 7E540378
	v_mov_b32_e32 v43, v121                                    // 000000002A7C: 7E560379
	v_cndmask_b32_e64 v120, v42, v38, s[42:43]                 // 000000002A80: D1000078 00AA4D2A
	v_cndmask_b32_e64 v122, v42, v39, s[78:79]                 // 000000002A88: D100007A 013A4F2A
	v_cndmask_b32_e64 v121, v43, v40, s[42:43]                 // 000000002A90: D1000079 00AA512B
	v_cndmask_b32_e64 v123, v43, v41, s[78:79]                 // 000000002A98: D100007B 013A532B
	v_mov_b32_dpp v38, v57 row_shr:4 row_mask:0xf bank_mask:0xf// 000000002AA0: 7E4C02FA FF011439
	v_mov_b32_dpp v39, v57 row_shl:4 row_mask:0xf bank_mask:0xf// 000000002AA8: 7E4E02FA FF010439
	v_cndmask_b32_e64 v124, v57, v38, s[44:45]                 // 000000002AB0: D100007C 00B24D39
	v_cndmask_b32_e64 v125, v39, v57, s[44:45]                 // 000000002AB8: D100007D 00B27327
	v_mov_b32_dpp v38, v124 row_shr:8 row_mask:0xf bank_mask:0xf// 000000002AC0: 7E4C02FA FF01187C
	v_mov_b32_dpp v39, v124 row_shl:8 row_mask:0xf bank_mask:0xf// 000000002AC8: 7E4E02FA FF01087C
	v_mov_b32_dpp v40, v125 row_shr:8 row_mask:0xf bank_mask:0xf// 000000002AD0: 7E5002FA FF01187D
	v_mov_b32_dpp v41, v125 row_shl:8 row_mask:0xf bank_mask:0xf// 000000002AD8: 7E5202FA FF01087D
	v_mov_b32_e32 v42, v124                                    // 000000002AE0: 7E54037C
	v_mov_b32_e32 v43, v125                                    // 000000002AE4: 7E56037D
	v_cndmask_b32_e64 v124, v42, v38, s[42:43]                 // 000000002AE8: D100007C 00AA4D2A
	v_cndmask_b32_e64 v126, v42, v39, s[78:79]                 // 000000002AF0: D100007E 013A4F2A
	v_cndmask_b32_e64 v125, v43, v40, s[42:43]                 // 000000002AF8: D100007D 00AA512B
	v_cndmask_b32_e64 v127, v43, v41, s[78:79]                 // 000000002B00: D100007F 013A532B
	buffer_load_dword v58, v56, s[36:39], 0 offen              // 000000002B08: E0501000 80093A38
	v_cvt_f32_i32_e32 v88, v88                                 // 000000002B10: 7EB00B58
	v_cvt_f32_i32_e32 v89, v89                                 // 000000002B14: 7EB20B59
	v_cvt_f32_i32_e32 v90, v90                                 // 000000002B18: 7EB40B5A
	v_cvt_f32_i32_e32 v91, v91                                 // 000000002B1C: 7EB60B5B
	v_cvt_f32_i32_e32 v92, v92                                 // 000000002B20: 7EB80B5C
	v_cvt_f32_i32_e32 v93, v93                                 // 000000002B24: 7EBA0B5D
	v_cvt_f32_i32_e32 v94, v94                                 // 000000002B28: 7EBC0B5E
	v_cvt_f32_i32_e32 v95, v95                                 // 000000002B2C: 7EBE0B5F
	v_cvt_f32_i32_e32 v96, v96                                 // 000000002B30: 7EC00B60
	v_cvt_f32_i32_e32 v97, v97                                 // 000000002B34: 7EC20B61
	v_cvt_f32_i32_e32 v98, v98                                 // 000000002B38: 7EC40B62
	v_cvt_f32_i32_e32 v99, v99                                 // 000000002B3C: 7EC60B63
	v_cvt_f32_i32_e32 v100, v100                               // 000000002B40: 7EC80B64
	v_cvt_f32_i32_e32 v101, v101                               // 000000002B44: 7ECA0B65
	v_cvt_f32_i32_e32 v102, v102                               // 000000002B48: 7ECC0B66
	v_cvt_f32_i32_e32 v103, v103                               // 000000002B4C: 7ECE0B67
	v_mul_f32_e32 v88, v48, v88                                // 000000002B50: 0AB0B130
	v_mul_f32_e32 v89, v48, v89                                // 000000002B54: 0AB2B330
	v_mul_f32_e32 v90, v48, v90                                // 000000002B58: 0AB4B530
	v_mul_f32_e32 v91, v48, v91                                // 000000002B5C: 0AB6B730
	v_mul_f32_e32 v92, v48, v92                                // 000000002B60: 0AB8B930
	v_mul_f32_e32 v93, v48, v93                                // 000000002B64: 0ABABB30
	v_mul_f32_e32 v94, v48, v94                                // 000000002B68: 0ABCBD30
	v_mul_f32_e32 v95, v48, v95                                // 000000002B6C: 0ABEBF30
	v_mul_f32_e32 v96, v48, v96                                // 000000002B70: 0AC0C130
	v_mul_f32_e32 v97, v48, v97                                // 000000002B74: 0AC2C330
	v_mul_f32_e32 v98, v48, v98                                // 000000002B78: 0AC4C530
	v_mul_f32_e32 v99, v48, v99                                // 000000002B7C: 0AC6C730
	v_mul_f32_e32 v100, v48, v100                              // 000000002B80: 0AC8C930
	v_mul_f32_e32 v101, v48, v101                              // 000000002B84: 0ACACB30
	v_mul_f32_e32 v102, v48, v102                              // 000000002B88: 0ACCCD30
	v_mul_f32_e32 v103, v48, v103                              // 000000002B8C: 0ACECF30
	buffer_load_dwordx4 v[176:179], v28, s[16:19], 0 offen     // 000000002B90: E05C1000 8004B01C
	v_mul_f32_dpp v88, v120, v88 quad_perm:[0,0,0,0] row_mask:0xf bank_mask:0xf// 000000002B98: 0AB0B0FA FF000078
	v_mul_f32_dpp v89, v120, v89 quad_perm:[1,1,1,1] row_mask:0xf bank_mask:0xf// 000000002BA0: 0AB2B2FA FF005578
	v_mul_f32_dpp v90, v120, v90 quad_perm:[2,2,2,2] row_mask:0xf bank_mask:0xf// 000000002BA8: 0AB4B4FA FF00AA78
	v_mul_f32_dpp v91, v120, v91 quad_perm:[3,3,3,3] row_mask:0xf bank_mask:0xf// 000000002BB0: 0AB6B6FA FF00FF78
	v_mul_f32_dpp v92, v121, v92 quad_perm:[0,0,0,0] row_mask:0xf bank_mask:0xf// 000000002BB8: 0AB8B8FA FF000079
	v_mul_f32_dpp v93, v121, v93 quad_perm:[1,1,1,1] row_mask:0xf bank_mask:0xf// 000000002BC0: 0ABABAFA FF005579
	v_mul_f32_dpp v94, v121, v94 quad_perm:[2,2,2,2] row_mask:0xf bank_mask:0xf// 000000002BC8: 0ABCBCFA FF00AA79
	v_mul_f32_dpp v95, v121, v95 quad_perm:[3,3,3,3] row_mask:0xf bank_mask:0xf// 000000002BD0: 0ABEBEFA FF00FF79
	v_mul_f32_dpp v96, v122, v96 quad_perm:[0,0,0,0] row_mask:0xf bank_mask:0xf// 000000002BD8: 0AC0C0FA FF00007A
	v_mul_f32_dpp v97, v122, v97 quad_perm:[1,1,1,1] row_mask:0xf bank_mask:0xf// 000000002BE0: 0AC2C2FA FF00557A
	v_mul_f32_dpp v98, v122, v98 quad_perm:[2,2,2,2] row_mask:0xf bank_mask:0xf// 000000002BE8: 0AC4C4FA FF00AA7A
	v_mul_f32_dpp v99, v122, v99 quad_perm:[3,3,3,3] row_mask:0xf bank_mask:0xf// 000000002BF0: 0AC6C6FA FF00FF7A
	v_mul_f32_dpp v100, v123, v100 quad_perm:[0,0,0,0] row_mask:0xf bank_mask:0xf// 000000002BF8: 0AC8C8FA FF00007B
	v_mul_f32_dpp v101, v123, v101 quad_perm:[1,1,1,1] row_mask:0xf bank_mask:0xf// 000000002C00: 0ACACAFA FF00557B
	v_mul_f32_dpp v102, v123, v102 quad_perm:[2,2,2,2] row_mask:0xf bank_mask:0xf// 000000002C08: 0ACCCCFA FF00AA7B
	v_mul_f32_dpp v103, v123, v103 quad_perm:[3,3,3,3] row_mask:0xf bank_mask:0xf// 000000002C10: 0ACECEFA FF00FF7B
	buffer_load_dwordx4 v[180:183], v28, s[16:19], 0 offen offset:1024// 000000002C18: E05C1400 8004B41C
	v_mov_b32_e32 v50, v88                                     // 000000002C20: 7E640358
	v_max3_f32 v50, v88, v89, v50                              // 000000002C24: D1D30032 04CAB358
	v_max3_f32 v50, v90, v91, v50                              // 000000002C2C: D1D30032 04CAB75A
	v_max3_f32 v50, v92, v93, v50                              // 000000002C34: D1D30032 04CABB5C
	v_max3_f32 v50, v94, v95, v50                              // 000000002C3C: D1D30032 04CABF5E
	v_max3_f32 v50, v96, v97, v50                              // 000000002C44: D1D30032 04CAC360
	v_max3_f32 v50, v98, v99, v50                              // 000000002C4C: D1D30032 04CAC762
	v_max3_f32 v50, v100, v101, v50                            // 000000002C54: D1D30032 04CACB64
	v_max3_f32 v50, v102, v103, v50                            // 000000002C5C: D1D30032 04CACF66
	ds_write_b32 v11, v50 offset:4224                          // 000000002C64: D81A1080 0000320B
	buffer_load_dwordx4 v[184:187], v29, s[16:19], 0 offen     // 000000002C6C: E05C1000 8004B81D
	v_mul_u32_u24_dpp v38, v17, v53 row_newbcast:1 row_mask:0xf bank_mask:0xf// 000000002C74: 104C6AFA FF015111
	v_mul_u32_u24_dpp v39, v17, v53 row_newbcast:5 row_mask:0xf bank_mask:0xf// 000000002C7C: 104E6AFA FF015511
	v_mul_u32_u24_dpp v40, v17, v53 row_newbcast:9 row_mask:0xf bank_mask:0xf// 000000002C84: 10506AFA FF015911
	v_mul_u32_u24_dpp v41, v17, v53 row_newbcast:13 row_mask:0xf bank_mask:0xf// 000000002C8C: 10526AFA FF015D11
	v_add_u32_e32 v34, v38, v7                                 // 000000002C94: 68440F26
	v_add_u32_e32 v35, v39, v7                                 // 000000002C98: 68460F27
	v_add_u32_e32 v36, v40, v7                                 // 000000002C9C: 68480F28
	v_add_u32_e32 v37, v41, v7                                 // 000000002CA0: 684A0F29
	s_waitcnt lgkmcnt(0)                                       // 000000002CA4: BF8CC07F
	s_barrier                                                  // 000000002CA8: BF8A0000
	ds_read_b32 v64, v10 offset:4224                           // 000000002CAC: D86C1080 4000000A
	ds_read_b32 v65, v10 offset:4288                           // 000000002CB4: D86C10C0 4100000A
	ds_read_b32 v66, v10 offset:4352                           // 000000002CBC: D86C1100 4200000A
	ds_read_b32 v67, v10 offset:4416                           // 000000002CC4: D86C1140 4300000A
	ds_read_b32 v68, v10 offset:4480                           // 000000002CCC: D86C1180 4400000A
	ds_read_b32 v69, v10 offset:4544                           // 000000002CD4: D86C11C0 4500000A
	ds_read_b32 v70, v10 offset:4608                           // 000000002CDC: D86C1200 4600000A
	ds_read_b32 v71, v10 offset:4672                           // 000000002CE4: D86C1240 4700000A
	ds_read_b32 v72, v10 offset:4736                           // 000000002CEC: D86C1280 4800000A
	ds_read_b32 v73, v10 offset:4800                           // 000000002CF4: D86C12C0 4900000A
	ds_read_b32 v74, v10 offset:4864                           // 000000002CFC: D86C1300 4A00000A
	ds_read_b32 v75, v10 offset:4928                           // 000000002D04: D86C1340 4B00000A
	ds_read_b32 v76, v10 offset:4992                           // 000000002D0C: D86C1380 4C00000A
	ds_read_b32 v77, v10 offset:5056                           // 000000002D14: D86C13C0 4D00000A
	ds_read_b32 v78, v10 offset:5120                           // 000000002D1C: D86C1400 4E00000A
	ds_read_b32 v79, v10 offset:5184                           // 000000002D24: D86C1440 4F00000A
	buffer_load_dwordx4 v[188:191], v29, s[16:19], 0 offen offset:1024// 000000002D2C: E05C1400 8004BC1D
	v_mul_f32_e32 v112, v51, v112                              // 000000002D34: 0AE0E133
	v_mul_f32_e32 v113, v51, v113                              // 000000002D38: 0AE2E333
	v_mul_f32_e32 v114, v51, v114                              // 000000002D3C: 0AE4E533
	v_mul_f32_e32 v115, v51, v115                              // 000000002D40: 0AE6E733
	v_mul_f32_e32 v116, v51, v116                              // 000000002D44: 0AE8E933
	v_mul_f32_e32 v117, v51, v117                              // 000000002D48: 0AEAEB33
	v_mul_f32_e32 v118, v51, v118                              // 000000002D4C: 0AECED33
	v_mul_f32_e32 v119, v51, v119                              // 000000002D50: 0AEEEF33
	s_waitcnt lgkmcnt(0)                                       // 000000002D54: BF8CC07F
	v_max3_f32 v50, v64, v65, v50                              // 000000002D58: D1D30032 04CA8340
	v_max3_f32 v50, v66, v67, v50                              // 000000002D60: D1D30032 04CA8742
	v_max3_f32 v50, v68, v69, v50                              // 000000002D68: D1D30032 04CA8B44
	v_max3_f32 v50, v70, v71, v50                              // 000000002D70: D1D30032 04CA8F46
	v_max3_f32 v50, v72, v73, v50                              // 000000002D78: D1D30032 04CA9348
	v_max3_f32 v50, v74, v75, v50                              // 000000002D80: D1D30032 04CA974A
	v_max3_f32 v50, v76, v77, v50                              // 000000002D88: D1D30032 04CA9B4C
	v_max3_f32 v50, v78, v79, v50                              // 000000002D90: D1D30032 04CA9F4E
	buffer_load_dwordx4 v[224:227], v34, s[20:23], 0 offen     // 000000002D98: E05C1000 8005E022
	v_cmp_eq_u32_e64 s[40:41], v54, v14                        // 000000002DA0: D0CA0028 00021D36
	s_nop 1                                                    // 000000002DA8: BF800001
	v_max_f32_e32 v15, v50, v14                                // 000000002DAC: 161E1D32
	v_mul_f32_e32 v52, s64, v15                                // 000000002DB0: 0A681E40
	v_fma_f32 v88, v88, s64, -v52                              // 000000002DB4: D1CB0058 84D08158
	v_fma_f32 v89, v89, s64, -v52                              // 000000002DBC: D1CB0059 84D08159
	v_fma_f32 v90, v90, s64, -v52                              // 000000002DC4: D1CB005A 84D0815A
	v_fma_f32 v91, v91, s64, -v52                              // 000000002DCC: D1CB005B 84D0815B
	v_fma_f32 v92, v92, s64, -v52                              // 000000002DD4: D1CB005C 84D0815C
	v_fma_f32 v93, v93, s64, -v52                              // 000000002DDC: D1CB005D 84D0815D
	v_fma_f32 v94, v94, s64, -v52                              // 000000002DE4: D1CB005E 84D0815E
	v_fma_f32 v95, v95, s64, -v52                              // 000000002DEC: D1CB005F 84D0815F
	v_fma_f32 v96, v96, s64, -v52                              // 000000002DF4: D1CB0060 84D08160
	v_fma_f32 v97, v97, s64, -v52                              // 000000002DFC: D1CB0061 84D08161
	v_fma_f32 v98, v98, s64, -v52                              // 000000002E04: D1CB0062 84D08162
	v_fma_f32 v99, v99, s64, -v52                              // 000000002E0C: D1CB0063 84D08163
	v_fma_f32 v100, v100, s64, -v52                            // 000000002E14: D1CB0064 84D08164
	v_fma_f32 v101, v101, s64, -v52                            // 000000002E1C: D1CB0065 84D08165
	v_fma_f32 v102, v102, s64, -v52                            // 000000002E24: D1CB0066 84D08166
	v_fma_f32 v103, v103, s64, -v52                            // 000000002E2C: D1CB0067 84D08167
	buffer_load_dwordx4 v[228:231], v35, s[20:23], 0 offen     // 000000002E34: E05C1000 8005E423
	v_exp_f32_e32 v88, v88                                     // 000000002E3C: 7EB04158
	v_exp_f32_e32 v89, v89                                     // 000000002E40: 7EB24159
	v_exp_f32_e32 v90, v90                                     // 000000002E44: 7EB4415A
	v_exp_f32_e32 v91, v91                                     // 000000002E48: 7EB6415B
	v_exp_f32_e32 v92, v92                                     // 000000002E4C: 7EB8415C
	v_exp_f32_e32 v93, v93                                     // 000000002E50: 7EBA415D
	v_exp_f32_e32 v94, v94                                     // 000000002E54: 7EBC415E
	v_exp_f32_e32 v95, v95                                     // 000000002E58: 7EBE415F
	v_exp_f32_e32 v96, v96                                     // 000000002E5C: 7EC04160
	v_exp_f32_e32 v97, v97                                     // 000000002E60: 7EC24161
	v_exp_f32_e32 v98, v98                                     // 000000002E64: 7EC44162
	v_exp_f32_e32 v99, v99                                     // 000000002E68: 7EC64163
	v_exp_f32_e32 v100, v100                                   // 000000002E6C: 7EC84164
	v_exp_f32_e32 v101, v101                                   // 000000002E70: 7ECA4165
	v_exp_f32_e32 v102, v102                                   // 000000002E74: 7ECC4166
	v_exp_f32_e32 v103, v103                                   // 000000002E78: 7ECE4167
	buffer_load_dwordx4 v[232:235], v36, s[20:23], 0 offen     // 000000002E7C: E05C1000 8005E824
	v_mul_f32_dpp v128, v124, v88 quad_perm:[0,0,0,0] row_mask:0xf bank_mask:0xf// 000000002E84: 0B00B0FA FF00007C
	v_mul_f32_dpp v129, v124, v89 quad_perm:[1,1,1,1] row_mask:0xf bank_mask:0xf// 000000002E8C: 0B02B2FA FF00557C
	v_mul_f32_dpp v130, v124, v90 quad_perm:[2,2,2,2] row_mask:0xf bank_mask:0xf// 000000002E94: 0B04B4FA FF00AA7C
	v_mul_f32_dpp v131, v124, v91 quad_perm:[3,3,3,3] row_mask:0xf bank_mask:0xf// 000000002E9C: 0B06B6FA FF00FF7C
	v_mul_f32_dpp v132, v125, v92 quad_perm:[0,0,0,0] row_mask:0xf bank_mask:0xf// 000000002EA4: 0B08B8FA FF00007D
	v_mul_f32_dpp v133, v125, v93 quad_perm:[1,1,1,1] row_mask:0xf bank_mask:0xf// 000000002EAC: 0B0ABAFA FF00557D
	v_mul_f32_dpp v134, v125, v94 quad_perm:[2,2,2,2] row_mask:0xf bank_mask:0xf// 000000002EB4: 0B0CBCFA FF00AA7D
	v_mul_f32_dpp v135, v125, v95 quad_perm:[3,3,3,3] row_mask:0xf bank_mask:0xf// 000000002EBC: 0B0EBEFA FF00FF7D
	v_mul_f32_dpp v136, v126, v96 quad_perm:[0,0,0,0] row_mask:0xf bank_mask:0xf// 000000002EC4: 0B10C0FA FF00007E
	v_mul_f32_dpp v137, v126, v97 quad_perm:[1,1,1,1] row_mask:0xf bank_mask:0xf// 000000002ECC: 0B12C2FA FF00557E
	v_mul_f32_dpp v138, v126, v98 quad_perm:[2,2,2,2] row_mask:0xf bank_mask:0xf// 000000002ED4: 0B14C4FA FF00AA7E
	v_mul_f32_dpp v139, v126, v99 quad_perm:[3,3,3,3] row_mask:0xf bank_mask:0xf// 000000002EDC: 0B16C6FA FF00FF7E
	v_mul_f32_dpp v140, v127, v100 quad_perm:[0,0,0,0] row_mask:0xf bank_mask:0xf// 000000002EE4: 0B18C8FA FF00007F
	v_mul_f32_dpp v141, v127, v101 quad_perm:[1,1,1,1] row_mask:0xf bank_mask:0xf// 000000002EEC: 0B1ACAFA FF00557F
	v_mul_f32_dpp v142, v127, v102 quad_perm:[2,2,2,2] row_mask:0xf bank_mask:0xf// 000000002EF4: 0B1CCCFA FF00AA7F
	v_mul_f32_dpp v143, v127, v103 quad_perm:[3,3,3,3] row_mask:0xf bank_mask:0xf// 000000002EFC: 0B1ECEFA FF00FF7F
	v_mov_b32_e32 v50, 0x358637bd                              // 000000002F04: 7E6402FF 358637BD
	v_max3_f32 v50, |v128|, |v129|, v50                        // 000000002F0C: D1D30332 04CB0380
	v_max3_f32 v50, |v130|, |v131|, v50                        // 000000002F14: D1D30332 04CB0782
	v_max3_f32 v50, |v132|, |v133|, v50                        // 000000002F1C: D1D30332 04CB0B84
	v_max3_f32 v50, |v134|, |v135|, v50                        // 000000002F24: D1D30332 04CB0F86
	v_max3_f32 v50, |v136|, |v137|, v50                        // 000000002F2C: D1D30332 04CB1388
	v_max3_f32 v50, |v138|, |v139|, v50                        // 000000002F34: D1D30332 04CB178A
	v_max3_f32 v50, |v140|, |v141|, v50                        // 000000002F3C: D1D30332 04CB1B8C
	v_max3_f32 v50, |v142|, |v143|, v50                        // 000000002F44: D1D30332 04CB1F8E
	buffer_load_dwordx4 v[236:239], v37, s[20:23], 0 offen     // 000000002F4C: E05C1000 8005EC25
	ds_write_b32 v11, v50 offset:5248                          // 000000002F54: D81A1480 0000320B
	v_sub_f32_e32 v51, v14, v15                                // 000000002F5C: 04661F0E
	v_cndmask_b32_e64 v51, v51, 0, s[40:41]                    // 000000002F60: D1000033 00A10133
	v_mov_b32_e32 v14, v15                                     // 000000002F68: 7E1C030F
	v_mul_f32_e32 v51, s64, v51                                // 000000002F6C: 0A666640
	v_exp_f32_e32 v51, v51                                     // 000000002F70: 7E664133
	s_waitcnt lgkmcnt(0)                                       // 000000002F74: BF8CC07F
	s_barrier                                                  // 000000002F78: BF8A0000
	ds_read_b32 v64, v10 offset:5248                           // 000000002F7C: D86C1480 4000000A
	ds_read_b32 v65, v10 offset:5312                           // 000000002F84: D86C14C0 4100000A
	ds_read_b32 v66, v10 offset:5376                           // 000000002F8C: D86C1500 4200000A
	ds_read_b32 v67, v10 offset:5440                           // 000000002F94: D86C1540 4300000A
	ds_read_b32 v68, v10 offset:5504                           // 000000002F9C: D86C1580 4400000A
	ds_read_b32 v69, v10 offset:5568                           // 000000002FA4: D86C15C0 4500000A
	ds_read_b32 v70, v10 offset:5632                           // 000000002FAC: D86C1600 4600000A
	ds_read_b32 v71, v10 offset:5696                           // 000000002FB4: D86C1640 4700000A
	ds_read_b32 v72, v10 offset:5760                           // 000000002FBC: D86C1680 4800000A
	ds_read_b32 v73, v10 offset:5824                           // 000000002FC4: D86C16C0 4900000A
	ds_read_b32 v74, v10 offset:5888                           // 000000002FCC: D86C1700 4A00000A
	ds_read_b32 v75, v10 offset:5952                           // 000000002FD4: D86C1740 4B00000A
	ds_read_b32 v76, v10 offset:6016                           // 000000002FDC: D86C1780 4C00000A
	ds_read_b32 v77, v10 offset:6080                           // 000000002FE4: D86C17C0 4D00000A
	ds_read_b32 v78, v10 offset:6144                           // 000000002FEC: D86C1800 4E00000A
	ds_read_b32 v79, v10 offset:6208                           // 000000002FF4: D86C1840 4F00000A
	v_mul_f32_e32 v44, v51, v44                                // 000000002FFC: 0A585933
	v_mov_b32_e32 v45, v88                                     // 000000003000: 7E5A0358
	v_add_f32_e32 v45, v89, v45                                // 000000003004: 025A5B59
	v_add_f32_e32 v45, v90, v45                                // 000000003008: 025A5B5A
	v_add_f32_e32 v45, v91, v45                                // 00000000300C: 025A5B5B
	v_add_f32_e32 v45, v92, v45                                // 000000003010: 025A5B5C
	v_add_f32_e32 v45, v93, v45                                // 000000003014: 025A5B5D
	v_add_f32_e32 v45, v94, v45                                // 000000003018: 025A5B5E
	v_add_f32_e32 v45, v95, v45                                // 00000000301C: 025A5B5F
	v_add_f32_e32 v45, v96, v45                                // 000000003020: 025A5B60
	v_add_f32_e32 v45, v97, v45                                // 000000003024: 025A5B61
	v_add_f32_e32 v45, v98, v45                                // 000000003028: 025A5B62
	v_add_f32_e32 v45, v99, v45                                // 00000000302C: 025A5B63
	v_add_f32_e32 v45, v100, v45                               // 000000003030: 025A5B64
	v_add_f32_e32 v45, v101, v45                               // 000000003034: 025A5B65
	v_add_f32_e32 v45, v102, v45                               // 000000003038: 025A5B66
	v_add_f32_e32 v45, v103, v45                               // 00000000303C: 025A5B67
	v_add_f32_e32 v44, v45, v44                                // 000000003040: 0258592D
	s_waitcnt lgkmcnt(0)                                       // 000000003044: BF8CC07F
	v_max3_f32 v50, |v64|, |v65|, v50                          // 000000003048: D1D30332 04CA8340
	v_max3_f32 v50, |v66|, |v67|, v50                          // 000000003050: D1D30332 04CA8742
	v_max3_f32 v50, |v68|, |v69|, v50                          // 000000003058: D1D30332 04CA8B44
	v_max3_f32 v50, |v70|, |v71|, v50                          // 000000003060: D1D30332 04CA8F46
	v_max3_f32 v50, |v72|, |v73|, v50                          // 000000003068: D1D30332 04CA9348
	v_max3_f32 v50, |v74|, |v75|, v50                          // 000000003070: D1D30332 04CA974A
	v_max3_f32 v50, |v76|, |v77|, v50                          // 000000003078: D1D30332 04CA9B4C
	v_max3_f32 v50, |v78|, |v79|, v50                          // 000000003080: D1D30332 04CA9F4E
	s_nop 2                                                    // 000000003088: BF800002
	v_rcp_f32_e32 v50, v50                                     // 00000000308C: 7E644532
	s_nop 1                                                    // 000000003090: BF800001
	v_mul_f32_e32 v50, 0x42fe0000, v50                         // 000000003094: 0A6464FF 42FE0000
	v_mul_f32_e32 v88, v50, v128                               // 00000000309C: 0AB10132
	v_mul_f32_e32 v89, v50, v129                               // 0000000030A0: 0AB30332
	v_mul_f32_e32 v90, v50, v130                               // 0000000030A4: 0AB50532
	v_mul_f32_e32 v91, v50, v131                               // 0000000030A8: 0AB70732
	v_mul_f32_e32 v92, v50, v132                               // 0000000030AC: 0AB90932
	v_mul_f32_e32 v93, v50, v133                               // 0000000030B0: 0ABB0B32
	v_mul_f32_e32 v94, v50, v134                               // 0000000030B4: 0ABD0D32
	v_mul_f32_e32 v95, v50, v135                               // 0000000030B8: 0ABF0F32
	v_mul_f32_e32 v96, v50, v136                               // 0000000030BC: 0AC11132
	v_mul_f32_e32 v97, v50, v137                               // 0000000030C0: 0AC31332
	v_mul_f32_e32 v98, v50, v138                               // 0000000030C4: 0AC51532
	v_mul_f32_e32 v99, v50, v139                               // 0000000030C8: 0AC71732
	v_mul_f32_e32 v100, v50, v140                              // 0000000030CC: 0AC91932
	v_mul_f32_e32 v101, v50, v141                              // 0000000030D0: 0ACB1B32
	v_mul_f32_e32 v102, v50, v142                              // 0000000030D4: 0ACD1D32
	v_mul_f32_e32 v103, v50, v143                              // 0000000030D8: 0ACF1F32
	v_cvt_i32_f32_e32 v88, v88                                 // 0000000030DC: 7EB01158
	v_cvt_i32_f32_e32 v89, v89                                 // 0000000030E0: 7EB21159
	v_cvt_i32_f32_e32 v90, v90                                 // 0000000030E4: 7EB4115A
	v_cvt_i32_f32_e32 v91, v91                                 // 0000000030E8: 7EB6115B
	v_cvt_i32_f32_e32 v92, v92                                 // 0000000030EC: 7EB8115C
	v_cvt_i32_f32_e32 v93, v93                                 // 0000000030F0: 7EBA115D
	v_cvt_i32_f32_e32 v94, v94                                 // 0000000030F4: 7EBC115E
	v_cvt_i32_f32_e32 v95, v95                                 // 0000000030F8: 7EBE115F
	v_cvt_i32_f32_e32 v96, v96                                 // 0000000030FC: 7EC01160
	v_cvt_i32_f32_e32 v97, v97                                 // 000000003100: 7EC21161
	v_cvt_i32_f32_e32 v98, v98                                 // 000000003104: 7EC41162
	v_cvt_i32_f32_e32 v99, v99                                 // 000000003108: 7EC61163
	v_cvt_i32_f32_e32 v100, v100                               // 00000000310C: 7EC81164
	v_cvt_i32_f32_e32 v101, v101                               // 000000003110: 7ECA1165
	v_cvt_i32_f32_e32 v102, v102                               // 000000003114: 7ECC1166
	v_cvt_i32_f32_e32 v103, v103                               // 000000003118: 7ECE1167
	v_perm_b32 v88, v89, v88, s53                              // 00000000311C: D1ED0058 00D6B159
	v_perm_b32 v88, v90, v88, s54                              // 000000003124: D1ED0058 00DAB15A
	v_perm_b32 v88, v91, v88, s55                              // 00000000312C: D1ED0058 00DEB15B
	v_perm_b32 v89, v93, v92, s53                              // 000000003134: D1ED0059 00D6B95D
	v_perm_b32 v89, v94, v89, s54                              // 00000000313C: D1ED0059 00DAB35E
	v_perm_b32 v89, v95, v89, s55                              // 000000003144: D1ED0059 00DEB35F
	v_perm_b32 v90, v97, v96, s53                              // 00000000314C: D1ED005A 00D6C161
	v_perm_b32 v90, v98, v90, s54                              // 000000003154: D1ED005A 00DAB562
	v_perm_b32 v90, v99, v90, s55                              // 00000000315C: D1ED005A 00DEB563
	v_perm_b32 v91, v101, v100, s53                            // 000000003164: D1ED005B 00D6C965
	v_perm_b32 v91, v102, v91, s54                             // 00000000316C: D1ED005B 00DAB766
	v_perm_b32 v91, v103, v91, s55                             // 000000003174: D1ED005B 00DEB767
	ds_write_b32 v13, v88 offset:6272                          // 00000000317C: D81A1880 0000580D
	ds_write_b32 v13, v89 offset:7296                          // 000000003184: D81A1C80 0000590D
	ds_write_b32 v13, v90 offset:8320                          // 00000000318C: D81A2080 00005A0D
	ds_write_b32 v13, v91 offset:9344                          // 000000003194: D81A2480 00005B0D
	v_cvt_f32_i32_e32 v104, v104                               // 00000000319C: 7ED00B68
	v_cvt_f32_i32_e32 v105, v105                               // 0000000031A0: 7ED20B69
	v_cvt_f32_i32_e32 v106, v106                               // 0000000031A4: 7ED40B6A
	v_cvt_f32_i32_e32 v107, v107                               // 0000000031A8: 7ED60B6B
	v_cvt_f32_i32_e32 v108, v108                               // 0000000031AC: 7ED80B6C
	v_cvt_f32_i32_e32 v109, v109                               // 0000000031B0: 7EDA0B6D
	v_cvt_f32_i32_e32 v110, v110                               // 0000000031B4: 7EDC0B6E
	v_cvt_f32_i32_e32 v111, v111                               // 0000000031B8: 7EDE0B6F
	v_mul_f32_e32 v104, v49, v104                              // 0000000031BC: 0AD0D131
	v_mul_f32_e32 v105, v49, v105                              // 0000000031C0: 0AD2D331
	v_mul_f32_e32 v106, v49, v106                              // 0000000031C4: 0AD4D531
	v_mul_f32_e32 v107, v49, v107                              // 0000000031C8: 0AD6D731
	v_mul_f32_e32 v108, v49, v108                              // 0000000031CC: 0AD8D931
	v_mul_f32_e32 v109, v49, v109                              // 0000000031D0: 0ADADB31
	v_mul_f32_e32 v110, v49, v110                              // 0000000031D4: 0ADCDD31
	v_mul_f32_e32 v111, v49, v111                              // 0000000031D8: 0ADEDF31
	v_rcp_f32_e32 v49, v50                                     // 0000000031DC: 7E624532
	s_waitcnt lgkmcnt(0)                                       // 0000000031E0: BF8CC07F
	s_barrier                                                  // 0000000031E4: BF8A0000
	ds_read_b64 v[88:89], v12 offset:6272                      // 0000000031E8: D8EC1880 5800000C
	ds_read_b64 v[90:91], v12 offset:6400                      // 0000000031F0: D8EC1900 5A00000C
	ds_read_b64 v[92:93], v12 offset:7296                      // 0000000031F8: D8EC1C80 5C00000C
	ds_read_b64 v[94:95], v12 offset:7424                      // 000000003200: D8EC1D00 5E00000C
	ds_read_b64 v[96:97], v12 offset:8320                      // 000000003208: D8EC2080 6000000C
	ds_read_b64 v[98:99], v12 offset:8448                      // 000000003210: D8EC2100 6200000C
	ds_read_b64 v[100:101], v12 offset:9344                    // 000000003218: D8EC2480 6400000C
	ds_read_b64 v[102:103], v12 offset:9472                    // 000000003220: D8EC2500 6600000C
	v_add_f32_e32 v112, v112, v104                             // 000000003228: 02E0D170
	v_add_f32_e32 v113, v113, v105                             // 00000000322C: 02E2D371
	v_add_f32_e32 v114, v114, v106                             // 000000003230: 02E4D572
	v_add_f32_e32 v115, v115, v107                             // 000000003234: 02E6D773
	v_add_f32_e32 v116, v116, v108                             // 000000003238: 02E8D974
	v_add_f32_e32 v117, v117, v109                             // 00000000323C: 02EADB75
	v_add_f32_e32 v118, v118, v110                             // 000000003240: 02ECDD76
	v_add_f32_e32 v119, v119, v111                             // 000000003244: 02EEDF77
	s_waitcnt vmcnt(15)                                        // 000000003248: BF8C0F7F
	s_waitcnt lgkmcnt(7)                                       // 00000000324C: BF8CC77F
	v_mfma_i32_16x16x32_i8 v[104:107], v[192:193], v[88:89], 0 // 000000003250: D3D70068 0202B1C0
	s_waitcnt lgkmcnt(6)                                       // 000000003258: BF8CC67F
	v_mfma_i32_16x16x32_i8 v[104:107], v[194:195], v[90:91], v[104:107]// 00000000325C: D3D70068 05A2B5C2
	buffer_load_dwordx4 v[240:243], v34, s[20:23], 0 offen offset:1024// 000000003264: E05C1400 8005F022
	s_waitcnt lgkmcnt(5)                                       // 00000000326C: BF8CC57F
	v_mfma_i32_16x16x32_i8 v[104:107], v[196:197], v[92:93], v[104:107]// 000000003270: D3D70068 05A2B9C4
	s_waitcnt lgkmcnt(4)                                       // 000000003278: BF8CC47F
	v_mfma_i32_16x16x32_i8 v[104:107], v[198:199], v[94:95], v[104:107]// 00000000327C: D3D70068 05A2BDC6
	s_waitcnt lgkmcnt(3)                                       // 000000003284: BF8CC37F
	v_mfma_i32_16x16x32_i8 v[104:107], v[200:201], v[96:97], v[104:107]// 000000003288: D3D70068 05A2C1C8
	s_waitcnt lgkmcnt(2)                                       // 000000003290: BF8CC27F
	v_mfma_i32_16x16x32_i8 v[104:107], v[202:203], v[98:99], v[104:107]// 000000003294: D3D70068 05A2C5CA
	buffer_load_dwordx4 v[244:247], v35, s[20:23], 0 offen offset:1024// 00000000329C: E05C1400 8005F423
	s_waitcnt lgkmcnt(1)                                       // 0000000032A4: BF8CC17F
	v_mfma_i32_16x16x32_i8 v[104:107], v[204:205], v[100:101], v[104:107]// 0000000032A8: D3D70068 05A2C9CC
	s_waitcnt lgkmcnt(0)                                       // 0000000032B0: BF8CC07F
	v_mfma_i32_16x16x32_i8 v[104:107], v[206:207], v[102:103], v[104:107]// 0000000032B4: D3D70068 05A2CDCE
	v_mfma_i32_16x16x32_i8 v[108:111], v[208:209], v[88:89], 0 // 0000000032BC: D3D7006C 0202B1D0
	v_mfma_i32_16x16x32_i8 v[108:111], v[210:211], v[90:91], v[108:111]// 0000000032C4: D3D7006C 05B2B5D2
	buffer_load_dwordx4 v[248:251], v36, s[20:23], 0 offen offset:1024// 0000000032CC: E05C1400 8005F824
	v_mfma_i32_16x16x32_i8 v[108:111], v[212:213], v[92:93], v[108:111]// 0000000032D4: D3D7006C 05B2B9D4
	v_mfma_i32_16x16x32_i8 v[108:111], v[214:215], v[94:95], v[108:111]// 0000000032DC: D3D7006C 05B2BDD6
	v_mfma_i32_16x16x32_i8 v[108:111], v[216:217], v[96:97], v[108:111]// 0000000032E4: D3D7006C 05B2C1D8
	v_mfma_i32_16x16x32_i8 v[108:111], v[218:219], v[98:99], v[108:111]// 0000000032EC: D3D7006C 05B2C5DA
	buffer_load_dwordx4 v[252:255], v37, s[20:23], 0 offen offset:1024// 0000000032F4: E05C1400 8005FC25
	v_mfma_i32_16x16x32_i8 v[108:111], v[220:221], v[100:101], v[108:111]// 0000000032FC: D3D7006C 05B2C9DC
	s_lshr_b32 s57, s70, 4                                     // 000000003304: 8F398446
	s_add_u32 s57, 48, s57                                     // 000000003308: 803939B0
	v_mfma_i32_16x16x32_i8 v[108:111], v[222:223], v[102:103], v[108:111]// 00000000330C: D3D7006C 05B2CDDE
	s_cmp_ge_u32 s57, s73                                      // 000000003314: BF094939
	s_cselect_b32 s56, 0, s56                                  // 000000003318: 85383880
	v_add_u32_e32 v1, s56, v1                                  // 00000000331C: 68020238
	s_addk_i32 s70, 0x100                                      // 000000003320: B7460100
	s_cmp_lt_i32 s70, s71                                      // 000000003324: BF044746
	s_cbranch_scc0 label_0708                                  // 000000003328: BF84027D
	s_waitcnt vmcnt(8) lgkmcnt(0)                              // 00000000332C: BF8C0078
	v_mul_u32_u24_dpp v38, v16, v53 row_newbcast:0 row_mask:0xf bank_mask:0xf// 000000003330: 104C6AFA FF015010
	v_mul_u32_u24_dpp v39, v16, v53 row_newbcast:4 row_mask:0xf bank_mask:0xf// 000000003338: 104E6AFA FF015410
	v_mul_u32_u24_dpp v40, v16, v53 row_newbcast:8 row_mask:0xf bank_mask:0xf// 000000003340: 10506AFA FF015810
	v_mul_u32_u24_dpp v41, v16, v53 row_newbcast:12 row_mask:0xf bank_mask:0xf// 000000003348: 10526AFA FF015C10
	v_add_u32_e32 v22, v38, v6                                 // 000000003350: 682C0D26
	v_add_u32_e32 v23, v39, v6                                 // 000000003354: 682E0D27
	v_add_u32_e32 v24, v40, v6                                 // 000000003358: 68300D28
	v_add_u32_e32 v25, v41, v6                                 // 00000000335C: 68320D29
	v_mul_u32_u24_dpp v38, v16, v63 quad_perm:[0,0,0,0] row_mask:0xf bank_mask:0xf// 000000003360: 104C7EFA FF000010
	v_add_u32_e32 v2, v38, v59                                 // 000000003368: 68047726
	v_mul_u32_u24_dpp v38, v16, v63 quad_perm:[0,0,0,0] row_mask:0xf bank_mask:0xf// 00000000336C: 104C7EFA FF000010
	v_add_u32_e32 v55, v38, v60                                // 000000003374: 686E7926
	v_mfma_i32_16x16x32_i8 v[88:91], v[160:161], v[80:81], 0   // 000000003378: D3D70058 0202A1A0
	v_mfma_i32_16x16x32_i8 v[88:91], v[162:163], v[82:83], v[88:91]// 000000003380: D3D70058 0562A5A2
	buffer_load_dwordx4 v[128:131], v22, s[16:19], 0 offen     // 000000003388: E05C1000 80048016
	v_mfma_i32_16x16x32_i8 v[88:91], v[164:165], v[84:85], v[88:91]// 000000003390: D3D70058 0562A9A4
	v_mfma_i32_16x16x32_i8 v[88:91], v[166:167], v[86:87], v[88:91]// 000000003398: D3D70058 0562ADA6
	buffer_load_dword v17, v1, s[24:27], 0 offen               // 0000000033A0: E0501000 80061101
	v_mfma_i32_16x16x32_i8 v[92:95], v[168:169], v[80:81], 0   // 0000000033A8: D3D7005C 0202A1A8
	v_mfma_i32_16x16x32_i8 v[92:95], v[170:171], v[82:83], v[92:95]// 0000000033B0: D3D7005C 0572A5AA
	buffer_load_dwordx4 v[132:135], v22, s[16:19], 0 offen offset:1024// 0000000033B8: E05C1400 80048416
	v_mfma_i32_16x16x32_i8 v[92:95], v[172:173], v[84:85], v[92:95]// 0000000033C0: D3D7005C 0572A9AC
	v_mfma_i32_16x16x32_i8 v[92:95], v[174:175], v[86:87], v[92:95]// 0000000033C8: D3D7005C 0572ADAE
	v_mfma_i32_16x16x32_i8 v[96:99], v[176:177], v[80:81], 0   // 0000000033D0: D3D70060 0202A1B0
	v_mfma_i32_16x16x32_i8 v[96:99], v[178:179], v[82:83], v[96:99]// 0000000033D8: D3D70060 0582A5B2
	buffer_load_dwordx4 v[136:139], v23, s[16:19], 0 offen     // 0000000033E0: E05C1000 80048817
	v_mfma_i32_16x16x32_i8 v[96:99], v[180:181], v[84:85], v[96:99]// 0000000033E8: D3D70060 0582A9B4
	v_mfma_i32_16x16x32_i8 v[96:99], v[182:183], v[86:87], v[96:99]// 0000000033F0: D3D70060 0582ADB6
	v_mfma_i32_16x16x32_i8 v[100:103], v[184:185], v[80:81], 0 // 0000000033F8: D3D70064 0202A1B8
	v_mfma_i32_16x16x32_i8 v[100:103], v[186:187], v[82:83], v[100:103]// 000000003400: D3D70064 0592A5BA
	buffer_load_dwordx4 v[140:143], v23, s[16:19], 0 offen offset:1024// 000000003408: E05C1400 80048C17
	v_mfma_i32_16x16x32_i8 v[100:103], v[188:189], v[84:85], v[100:103]// 000000003410: D3D70064 0592A9BC
	v_mfma_i32_16x16x32_i8 v[100:103], v[190:191], v[86:87], v[100:103]// 000000003418: D3D70064 0592ADBE
	buffer_load_dword v46, v2, s[32:35], 0 offen               // 000000003420: E0501000 80082E02
	v_mov_b32_dpp v38, v47 row_shr:4 row_mask:0xf bank_mask:0xf// 000000003428: 7E4C02FA FF01142F
	v_mov_b32_dpp v39, v47 row_shl:4 row_mask:0xf bank_mask:0xf// 000000003430: 7E4E02FA FF01042F
	v_cndmask_b32_e64 v120, v47, v38, s[44:45]                 // 000000003438: D1000078 00B24D2F
	v_cndmask_b32_e64 v121, v39, v47, s[44:45]                 // 000000003440: D1000079 00B25F27
	v_mov_b32_dpp v38, v120 row_shr:8 row_mask:0xf bank_mask:0xf// 000000003448: 7E4C02FA FF011878
	v_mov_b32_dpp v39, v120 row_shl:8 row_mask:0xf bank_mask:0xf// 000000003450: 7E4E02FA FF010878
	v_mov_b32_dpp v40, v121 row_shr:8 row_mask:0xf bank_mask:0xf// 000000003458: 7E5002FA FF011879
	v_mov_b32_dpp v41, v121 row_shl:8 row_mask:0xf bank_mask:0xf// 000000003460: 7E5202FA FF010879
	v_mov_b32_e32 v42, v120                                    // 000000003468: 7E540378
	v_mov_b32_e32 v43, v121                                    // 00000000346C: 7E560379
	v_cndmask_b32_e64 v120, v42, v38, s[42:43]                 // 000000003470: D1000078 00AA4D2A
	v_cndmask_b32_e64 v122, v42, v39, s[78:79]                 // 000000003478: D100007A 013A4F2A
	v_cndmask_b32_e64 v121, v43, v40, s[42:43]                 // 000000003480: D1000079 00AA512B
	v_cndmask_b32_e64 v123, v43, v41, s[78:79]                 // 000000003488: D100007B 013A532B
	v_mov_b32_dpp v38, v58 row_shr:4 row_mask:0xf bank_mask:0xf// 000000003490: 7E4C02FA FF01143A
	v_mov_b32_dpp v39, v58 row_shl:4 row_mask:0xf bank_mask:0xf// 000000003498: 7E4E02FA FF01043A
	v_cndmask_b32_e64 v124, v58, v38, s[44:45]                 // 0000000034A0: D100007C 00B24D3A
	v_cndmask_b32_e64 v125, v39, v58, s[44:45]                 // 0000000034A8: D100007D 00B27527
	v_mov_b32_dpp v38, v124 row_shr:8 row_mask:0xf bank_mask:0xf// 0000000034B0: 7E4C02FA FF01187C
	v_mov_b32_dpp v39, v124 row_shl:8 row_mask:0xf bank_mask:0xf// 0000000034B8: 7E4E02FA FF01087C
	v_mov_b32_dpp v40, v125 row_shr:8 row_mask:0xf bank_mask:0xf// 0000000034C0: 7E5002FA FF01187D
	v_mov_b32_dpp v41, v125 row_shl:8 row_mask:0xf bank_mask:0xf// 0000000034C8: 7E5202FA FF01087D
	v_mov_b32_e32 v42, v124                                    // 0000000034D0: 7E54037C
	v_mov_b32_e32 v43, v125                                    // 0000000034D4: 7E56037D
	v_cndmask_b32_e64 v124, v42, v38, s[42:43]                 // 0000000034D8: D100007C 00AA4D2A
	v_cndmask_b32_e64 v126, v42, v39, s[78:79]                 // 0000000034E0: D100007E 013A4F2A
	v_cndmask_b32_e64 v125, v43, v40, s[42:43]                 // 0000000034E8: D100007D 00AA512B
	v_cndmask_b32_e64 v127, v43, v41, s[78:79]                 // 0000000034F0: D100007F 013A532B
	buffer_load_dword v57, v55, s[36:39], 0 offen              // 0000000034F8: E0501000 80093937
	v_cvt_f32_i32_e32 v88, v88                                 // 000000003500: 7EB00B58
	v_cvt_f32_i32_e32 v89, v89                                 // 000000003504: 7EB20B59
	v_cvt_f32_i32_e32 v90, v90                                 // 000000003508: 7EB40B5A
	v_cvt_f32_i32_e32 v91, v91                                 // 00000000350C: 7EB60B5B
	v_cvt_f32_i32_e32 v92, v92                                 // 000000003510: 7EB80B5C
	v_cvt_f32_i32_e32 v93, v93                                 // 000000003514: 7EBA0B5D
	v_cvt_f32_i32_e32 v94, v94                                 // 000000003518: 7EBC0B5E
	v_cvt_f32_i32_e32 v95, v95                                 // 00000000351C: 7EBE0B5F
	v_cvt_f32_i32_e32 v96, v96                                 // 000000003520: 7EC00B60
	v_cvt_f32_i32_e32 v97, v97                                 // 000000003524: 7EC20B61
	v_cvt_f32_i32_e32 v98, v98                                 // 000000003528: 7EC40B62
	v_cvt_f32_i32_e32 v99, v99                                 // 00000000352C: 7EC60B63
	v_cvt_f32_i32_e32 v100, v100                               // 000000003530: 7EC80B64
	v_cvt_f32_i32_e32 v101, v101                               // 000000003534: 7ECA0B65
	v_cvt_f32_i32_e32 v102, v102                               // 000000003538: 7ECC0B66
	v_cvt_f32_i32_e32 v103, v103                               // 00000000353C: 7ECE0B67
	v_mul_f32_e32 v88, v48, v88                                // 000000003540: 0AB0B130
	v_mul_f32_e32 v89, v48, v89                                // 000000003544: 0AB2B330
	v_mul_f32_e32 v90, v48, v90                                // 000000003548: 0AB4B530
	v_mul_f32_e32 v91, v48, v91                                // 00000000354C: 0AB6B730
	v_mul_f32_e32 v92, v48, v92                                // 000000003550: 0AB8B930
	v_mul_f32_e32 v93, v48, v93                                // 000000003554: 0ABABB30
	v_mul_f32_e32 v94, v48, v94                                // 000000003558: 0ABCBD30
	v_mul_f32_e32 v95, v48, v95                                // 00000000355C: 0ABEBF30
	v_mul_f32_e32 v96, v48, v96                                // 000000003560: 0AC0C130
	v_mul_f32_e32 v97, v48, v97                                // 000000003564: 0AC2C330
	v_mul_f32_e32 v98, v48, v98                                // 000000003568: 0AC4C530
	v_mul_f32_e32 v99, v48, v99                                // 00000000356C: 0AC6C730
	v_mul_f32_e32 v100, v48, v100                              // 000000003570: 0AC8C930
	v_mul_f32_e32 v101, v48, v101                              // 000000003574: 0ACACB30
	v_mul_f32_e32 v102, v48, v102                              // 000000003578: 0ACCCD30
	v_mul_f32_e32 v103, v48, v103                              // 00000000357C: 0ACECF30
	buffer_load_dwordx4 v[144:147], v24, s[16:19], 0 offen     // 000000003580: E05C1000 80049018
	v_mul_f32_dpp v88, v120, v88 quad_perm:[0,0,0,0] row_mask:0xf bank_mask:0xf// 000000003588: 0AB0B0FA FF000078
	v_mul_f32_dpp v89, v120, v89 quad_perm:[1,1,1,1] row_mask:0xf bank_mask:0xf// 000000003590: 0AB2B2FA FF005578
	v_mul_f32_dpp v90, v120, v90 quad_perm:[2,2,2,2] row_mask:0xf bank_mask:0xf// 000000003598: 0AB4B4FA FF00AA78
	v_mul_f32_dpp v91, v120, v91 quad_perm:[3,3,3,3] row_mask:0xf bank_mask:0xf// 0000000035A0: 0AB6B6FA FF00FF78
	v_mul_f32_dpp v92, v121, v92 quad_perm:[0,0,0,0] row_mask:0xf bank_mask:0xf// 0000000035A8: 0AB8B8FA FF000079
	v_mul_f32_dpp v93, v121, v93 quad_perm:[1,1,1,1] row_mask:0xf bank_mask:0xf// 0000000035B0: 0ABABAFA FF005579
	v_mul_f32_dpp v94, v121, v94 quad_perm:[2,2,2,2] row_mask:0xf bank_mask:0xf// 0000000035B8: 0ABCBCFA FF00AA79
	v_mul_f32_dpp v95, v121, v95 quad_perm:[3,3,3,3] row_mask:0xf bank_mask:0xf// 0000000035C0: 0ABEBEFA FF00FF79
	v_mul_f32_dpp v96, v122, v96 quad_perm:[0,0,0,0] row_mask:0xf bank_mask:0xf// 0000000035C8: 0AC0C0FA FF00007A
	v_mul_f32_dpp v97, v122, v97 quad_perm:[1,1,1,1] row_mask:0xf bank_mask:0xf// 0000000035D0: 0AC2C2FA FF00557A
	v_mul_f32_dpp v98, v122, v98 quad_perm:[2,2,2,2] row_mask:0xf bank_mask:0xf// 0000000035D8: 0AC4C4FA FF00AA7A
	v_mul_f32_dpp v99, v122, v99 quad_perm:[3,3,3,3] row_mask:0xf bank_mask:0xf// 0000000035E0: 0AC6C6FA FF00FF7A
	v_mul_f32_dpp v100, v123, v100 quad_perm:[0,0,0,0] row_mask:0xf bank_mask:0xf// 0000000035E8: 0AC8C8FA FF00007B
	v_mul_f32_dpp v101, v123, v101 quad_perm:[1,1,1,1] row_mask:0xf bank_mask:0xf// 0000000035F0: 0ACACAFA FF00557B
	v_mul_f32_dpp v102, v123, v102 quad_perm:[2,2,2,2] row_mask:0xf bank_mask:0xf// 0000000035F8: 0ACCCCFA FF00AA7B
	v_mul_f32_dpp v103, v123, v103 quad_perm:[3,3,3,3] row_mask:0xf bank_mask:0xf// 000000003600: 0ACECEFA FF00FF7B
	buffer_load_dwordx4 v[148:151], v24, s[16:19], 0 offen offset:1024// 000000003608: E05C1400 80049418
	v_mov_b32_e32 v50, v88                                     // 000000003610: 7E640358
	v_max3_f32 v50, v88, v89, v50                              // 000000003614: D1D30032 04CAB358
	v_max3_f32 v50, v90, v91, v50                              // 00000000361C: D1D30032 04CAB75A
	v_max3_f32 v50, v92, v93, v50                              // 000000003624: D1D30032 04CABB5C
	v_max3_f32 v50, v94, v95, v50                              // 00000000362C: D1D30032 04CABF5E
	v_max3_f32 v50, v96, v97, v50                              // 000000003634: D1D30032 04CAC360
	v_max3_f32 v50, v98, v99, v50                              // 00000000363C: D1D30032 04CAC762
	v_max3_f32 v50, v100, v101, v50                            // 000000003644: D1D30032 04CACB64
	v_max3_f32 v50, v102, v103, v50                            // 00000000364C: D1D30032 04CACF66
	ds_write_b32 v11, v50 offset:4224                          // 000000003654: D81A1080 0000320B
	buffer_load_dwordx4 v[152:155], v25, s[16:19], 0 offen     // 00000000365C: E05C1000 80049819
	v_mul_u32_u24_dpp v38, v16, v53 row_newbcast:1 row_mask:0xf bank_mask:0xf// 000000003664: 104C6AFA FF015110
	v_mul_u32_u24_dpp v39, v16, v53 row_newbcast:5 row_mask:0xf bank_mask:0xf// 00000000366C: 104E6AFA FF015510
	v_mul_u32_u24_dpp v40, v16, v53 row_newbcast:9 row_mask:0xf bank_mask:0xf// 000000003674: 10506AFA FF015910
	v_mul_u32_u24_dpp v41, v16, v53 row_newbcast:13 row_mask:0xf bank_mask:0xf// 00000000367C: 10526AFA FF015D10
	v_add_u32_e32 v30, v38, v7                                 // 000000003684: 683C0F26
	v_add_u32_e32 v31, v39, v7                                 // 000000003688: 683E0F27
	v_add_u32_e32 v32, v40, v7                                 // 00000000368C: 68400F28
	v_add_u32_e32 v33, v41, v7                                 // 000000003690: 68420F29
	s_waitcnt lgkmcnt(0)                                       // 000000003694: BF8CC07F
	s_barrier                                                  // 000000003698: BF8A0000
	ds_read_b32 v64, v10 offset:4224                           // 00000000369C: D86C1080 4000000A
	ds_read_b32 v65, v10 offset:4288                           // 0000000036A4: D86C10C0 4100000A
	ds_read_b32 v66, v10 offset:4352                           // 0000000036AC: D86C1100 4200000A
	ds_read_b32 v67, v10 offset:4416                           // 0000000036B4: D86C1140 4300000A
	ds_read_b32 v68, v10 offset:4480                           // 0000000036BC: D86C1180 4400000A
	ds_read_b32 v69, v10 offset:4544                           // 0000000036C4: D86C11C0 4500000A
	ds_read_b32 v70, v10 offset:4608                           // 0000000036CC: D86C1200 4600000A
	ds_read_b32 v71, v10 offset:4672                           // 0000000036D4: D86C1240 4700000A
	ds_read_b32 v72, v10 offset:4736                           // 0000000036DC: D86C1280 4800000A
	ds_read_b32 v73, v10 offset:4800                           // 0000000036E4: D86C12C0 4900000A
	ds_read_b32 v74, v10 offset:4864                           // 0000000036EC: D86C1300 4A00000A
	ds_read_b32 v75, v10 offset:4928                           // 0000000036F4: D86C1340 4B00000A
	ds_read_b32 v76, v10 offset:4992                           // 0000000036FC: D86C1380 4C00000A
	ds_read_b32 v77, v10 offset:5056                           // 000000003704: D86C13C0 4D00000A
	ds_read_b32 v78, v10 offset:5120                           // 00000000370C: D86C1400 4E00000A
	ds_read_b32 v79, v10 offset:5184                           // 000000003714: D86C1440 4F00000A
	buffer_load_dwordx4 v[156:159], v25, s[16:19], 0 offen offset:1024// 00000000371C: E05C1400 80049C19
	v_mul_f32_e32 v112, v51, v112                              // 000000003724: 0AE0E133
	v_mul_f32_e32 v113, v51, v113                              // 000000003728: 0AE2E333
	v_mul_f32_e32 v114, v51, v114                              // 00000000372C: 0AE4E533
	v_mul_f32_e32 v115, v51, v115                              // 000000003730: 0AE6E733
	v_mul_f32_e32 v116, v51, v116                              // 000000003734: 0AE8E933
	v_mul_f32_e32 v117, v51, v117                              // 000000003738: 0AEAEB33
	v_mul_f32_e32 v118, v51, v118                              // 00000000373C: 0AECED33
	v_mul_f32_e32 v119, v51, v119                              // 000000003740: 0AEEEF33
	s_waitcnt lgkmcnt(0)                                       // 000000003744: BF8CC07F
	v_max3_f32 v50, v64, v65, v50                              // 000000003748: D1D30032 04CA8340
	v_max3_f32 v50, v66, v67, v50                              // 000000003750: D1D30032 04CA8742
	v_max3_f32 v50, v68, v69, v50                              // 000000003758: D1D30032 04CA8B44
	v_max3_f32 v50, v70, v71, v50                              // 000000003760: D1D30032 04CA8F46
	v_max3_f32 v50, v72, v73, v50                              // 000000003768: D1D30032 04CA9348
	v_max3_f32 v50, v74, v75, v50                              // 000000003770: D1D30032 04CA974A
	v_max3_f32 v50, v76, v77, v50                              // 000000003778: D1D30032 04CA9B4C
	v_max3_f32 v50, v78, v79, v50                              // 000000003780: D1D30032 04CA9F4E
	buffer_load_dwordx4 v[192:195], v30, s[20:23], 0 offen     // 000000003788: E05C1000 8005C01E
	v_cmp_eq_u32_e64 s[40:41], v54, v14                        // 000000003790: D0CA0028 00021D36
	s_nop 1                                                    // 000000003798: BF800001
	v_max_f32_e32 v15, v50, v14                                // 00000000379C: 161E1D32
	v_mul_f32_e32 v52, s64, v15                                // 0000000037A0: 0A681E40
	v_fma_f32 v88, v88, s64, -v52                              // 0000000037A4: D1CB0058 84D08158
	v_fma_f32 v89, v89, s64, -v52                              // 0000000037AC: D1CB0059 84D08159
	v_fma_f32 v90, v90, s64, -v52                              // 0000000037B4: D1CB005A 84D0815A
	v_fma_f32 v91, v91, s64, -v52                              // 0000000037BC: D1CB005B 84D0815B
	v_fma_f32 v92, v92, s64, -v52                              // 0000000037C4: D1CB005C 84D0815C
	v_fma_f32 v93, v93, s64, -v52                              // 0000000037CC: D1CB005D 84D0815D
	v_fma_f32 v94, v94, s64, -v52                              // 0000000037D4: D1CB005E 84D0815E
	v_fma_f32 v95, v95, s64, -v52                              // 0000000037DC: D1CB005F 84D0815F
	v_fma_f32 v96, v96, s64, -v52                              // 0000000037E4: D1CB0060 84D08160
	v_fma_f32 v97, v97, s64, -v52                              // 0000000037EC: D1CB0061 84D08161
	v_fma_f32 v98, v98, s64, -v52                              // 0000000037F4: D1CB0062 84D08162
	v_fma_f32 v99, v99, s64, -v52                              // 0000000037FC: D1CB0063 84D08163
	v_fma_f32 v100, v100, s64, -v52                            // 000000003804: D1CB0064 84D08164
	v_fma_f32 v101, v101, s64, -v52                            // 00000000380C: D1CB0065 84D08165
	v_fma_f32 v102, v102, s64, -v52                            // 000000003814: D1CB0066 84D08166
	v_fma_f32 v103, v103, s64, -v52                            // 00000000381C: D1CB0067 84D08167
	buffer_load_dwordx4 v[196:199], v31, s[20:23], 0 offen     // 000000003824: E05C1000 8005C41F
	v_exp_f32_e32 v88, v88                                     // 00000000382C: 7EB04158
	v_exp_f32_e32 v89, v89                                     // 000000003830: 7EB24159
	v_exp_f32_e32 v90, v90                                     // 000000003834: 7EB4415A
	v_exp_f32_e32 v91, v91                                     // 000000003838: 7EB6415B
	v_exp_f32_e32 v92, v92                                     // 00000000383C: 7EB8415C
	v_exp_f32_e32 v93, v93                                     // 000000003840: 7EBA415D
	v_exp_f32_e32 v94, v94                                     // 000000003844: 7EBC415E
	v_exp_f32_e32 v95, v95                                     // 000000003848: 7EBE415F
	v_exp_f32_e32 v96, v96                                     // 00000000384C: 7EC04160
	v_exp_f32_e32 v97, v97                                     // 000000003850: 7EC24161
	v_exp_f32_e32 v98, v98                                     // 000000003854: 7EC44162
	v_exp_f32_e32 v99, v99                                     // 000000003858: 7EC64163
	v_exp_f32_e32 v100, v100                                   // 00000000385C: 7EC84164
	v_exp_f32_e32 v101, v101                                   // 000000003860: 7ECA4165
	v_exp_f32_e32 v102, v102                                   // 000000003864: 7ECC4166
	v_exp_f32_e32 v103, v103                                   // 000000003868: 7ECE4167
	buffer_load_dwordx4 v[200:203], v32, s[20:23], 0 offen     // 00000000386C: E05C1000 8005C820
	v_mul_f32_dpp v160, v124, v88 quad_perm:[0,0,0,0] row_mask:0xf bank_mask:0xf// 000000003874: 0B40B0FA FF00007C
	v_mul_f32_dpp v161, v124, v89 quad_perm:[1,1,1,1] row_mask:0xf bank_mask:0xf// 00000000387C: 0B42B2FA FF00557C
	v_mul_f32_dpp v162, v124, v90 quad_perm:[2,2,2,2] row_mask:0xf bank_mask:0xf// 000000003884: 0B44B4FA FF00AA7C
	v_mul_f32_dpp v163, v124, v91 quad_perm:[3,3,3,3] row_mask:0xf bank_mask:0xf// 00000000388C: 0B46B6FA FF00FF7C
	v_mul_f32_dpp v164, v125, v92 quad_perm:[0,0,0,0] row_mask:0xf bank_mask:0xf// 000000003894: 0B48B8FA FF00007D
	v_mul_f32_dpp v165, v125, v93 quad_perm:[1,1,1,1] row_mask:0xf bank_mask:0xf// 00000000389C: 0B4ABAFA FF00557D
	v_mul_f32_dpp v166, v125, v94 quad_perm:[2,2,2,2] row_mask:0xf bank_mask:0xf// 0000000038A4: 0B4CBCFA FF00AA7D
	v_mul_f32_dpp v167, v125, v95 quad_perm:[3,3,3,3] row_mask:0xf bank_mask:0xf// 0000000038AC: 0B4EBEFA FF00FF7D
	v_mul_f32_dpp v168, v126, v96 quad_perm:[0,0,0,0] row_mask:0xf bank_mask:0xf// 0000000038B4: 0B50C0FA FF00007E
	v_mul_f32_dpp v169, v126, v97 quad_perm:[1,1,1,1] row_mask:0xf bank_mask:0xf// 0000000038BC: 0B52C2FA FF00557E
	v_mul_f32_dpp v170, v126, v98 quad_perm:[2,2,2,2] row_mask:0xf bank_mask:0xf// 0000000038C4: 0B54C4FA FF00AA7E
	v_mul_f32_dpp v171, v126, v99 quad_perm:[3,3,3,3] row_mask:0xf bank_mask:0xf// 0000000038CC: 0B56C6FA FF00FF7E
	v_mul_f32_dpp v172, v127, v100 quad_perm:[0,0,0,0] row_mask:0xf bank_mask:0xf// 0000000038D4: 0B58C8FA FF00007F
	v_mul_f32_dpp v173, v127, v101 quad_perm:[1,1,1,1] row_mask:0xf bank_mask:0xf// 0000000038DC: 0B5ACAFA FF00557F
	v_mul_f32_dpp v174, v127, v102 quad_perm:[2,2,2,2] row_mask:0xf bank_mask:0xf// 0000000038E4: 0B5CCCFA FF00AA7F
	v_mul_f32_dpp v175, v127, v103 quad_perm:[3,3,3,3] row_mask:0xf bank_mask:0xf// 0000000038EC: 0B5ECEFA FF00FF7F
	v_mov_b32_e32 v50, 0x358637bd                              // 0000000038F4: 7E6402FF 358637BD
	v_max3_f32 v50, |v160|, |v161|, v50                        // 0000000038FC: D1D30332 04CB43A0
	v_max3_f32 v50, |v162|, |v163|, v50                        // 000000003904: D1D30332 04CB47A2
	v_max3_f32 v50, |v164|, |v165|, v50                        // 00000000390C: D1D30332 04CB4BA4
	v_max3_f32 v50, |v166|, |v167|, v50                        // 000000003914: D1D30332 04CB4FA6
	v_max3_f32 v50, |v168|, |v169|, v50                        // 00000000391C: D1D30332 04CB53A8
	v_max3_f32 v50, |v170|, |v171|, v50                        // 000000003924: D1D30332 04CB57AA
	v_max3_f32 v50, |v172|, |v173|, v50                        // 00000000392C: D1D30332 04CB5BAC
	v_max3_f32 v50, |v174|, |v175|, v50                        // 000000003934: D1D30332 04CB5FAE
	buffer_load_dwordx4 v[204:207], v33, s[20:23], 0 offen     // 00000000393C: E05C1000 8005CC21
	ds_write_b32 v11, v50 offset:5248                          // 000000003944: D81A1480 0000320B
	v_sub_f32_e32 v51, v14, v15                                // 00000000394C: 04661F0E
	v_cndmask_b32_e64 v51, v51, 0, s[40:41]                    // 000000003950: D1000033 00A10133
	v_mov_b32_e32 v14, v15                                     // 000000003958: 7E1C030F
	v_mul_f32_e32 v51, s64, v51                                // 00000000395C: 0A666640
	v_exp_f32_e32 v51, v51                                     // 000000003960: 7E664133
	s_waitcnt lgkmcnt(0)                                       // 000000003964: BF8CC07F
	s_barrier                                                  // 000000003968: BF8A0000
	ds_read_b32 v64, v10 offset:5248                           // 00000000396C: D86C1480 4000000A
	ds_read_b32 v65, v10 offset:5312                           // 000000003974: D86C14C0 4100000A
	ds_read_b32 v66, v10 offset:5376                           // 00000000397C: D86C1500 4200000A
	ds_read_b32 v67, v10 offset:5440                           // 000000003984: D86C1540 4300000A
	ds_read_b32 v68, v10 offset:5504                           // 00000000398C: D86C1580 4400000A
	ds_read_b32 v69, v10 offset:5568                           // 000000003994: D86C15C0 4500000A
	ds_read_b32 v70, v10 offset:5632                           // 00000000399C: D86C1600 4600000A
	ds_read_b32 v71, v10 offset:5696                           // 0000000039A4: D86C1640 4700000A
	ds_read_b32 v72, v10 offset:5760                           // 0000000039AC: D86C1680 4800000A
	ds_read_b32 v73, v10 offset:5824                           // 0000000039B4: D86C16C0 4900000A
	ds_read_b32 v74, v10 offset:5888                           // 0000000039BC: D86C1700 4A00000A
	ds_read_b32 v75, v10 offset:5952                           // 0000000039C4: D86C1740 4B00000A
	ds_read_b32 v76, v10 offset:6016                           // 0000000039CC: D86C1780 4C00000A
	ds_read_b32 v77, v10 offset:6080                           // 0000000039D4: D86C17C0 4D00000A
	ds_read_b32 v78, v10 offset:6144                           // 0000000039DC: D86C1800 4E00000A
	ds_read_b32 v79, v10 offset:6208                           // 0000000039E4: D86C1840 4F00000A
	v_mul_f32_e32 v44, v51, v44                                // 0000000039EC: 0A585933
	v_mov_b32_e32 v45, v88                                     // 0000000039F0: 7E5A0358
	v_add_f32_e32 v45, v89, v45                                // 0000000039F4: 025A5B59
	v_add_f32_e32 v45, v90, v45                                // 0000000039F8: 025A5B5A
	v_add_f32_e32 v45, v91, v45                                // 0000000039FC: 025A5B5B
	v_add_f32_e32 v45, v92, v45                                // 000000003A00: 025A5B5C
	v_add_f32_e32 v45, v93, v45                                // 000000003A04: 025A5B5D
	v_add_f32_e32 v45, v94, v45                                // 000000003A08: 025A5B5E
	v_add_f32_e32 v45, v95, v45                                // 000000003A0C: 025A5B5F
	v_add_f32_e32 v45, v96, v45                                // 000000003A10: 025A5B60
	v_add_f32_e32 v45, v97, v45                                // 000000003A14: 025A5B61
	v_add_f32_e32 v45, v98, v45                                // 000000003A18: 025A5B62
	v_add_f32_e32 v45, v99, v45                                // 000000003A1C: 025A5B63
	v_add_f32_e32 v45, v100, v45                               // 000000003A20: 025A5B64
	v_add_f32_e32 v45, v101, v45                               // 000000003A24: 025A5B65
	v_add_f32_e32 v45, v102, v45                               // 000000003A28: 025A5B66
	v_add_f32_e32 v45, v103, v45                               // 000000003A2C: 025A5B67
	v_add_f32_e32 v44, v45, v44                                // 000000003A30: 0258592D
	s_waitcnt lgkmcnt(0)                                       // 000000003A34: BF8CC07F
	v_max3_f32 v50, |v64|, |v65|, v50                          // 000000003A38: D1D30332 04CA8340
	v_max3_f32 v50, |v66|, |v67|, v50                          // 000000003A40: D1D30332 04CA8742
	v_max3_f32 v50, |v68|, |v69|, v50                          // 000000003A48: D1D30332 04CA8B44
	v_max3_f32 v50, |v70|, |v71|, v50                          // 000000003A50: D1D30332 04CA8F46
	v_max3_f32 v50, |v72|, |v73|, v50                          // 000000003A58: D1D30332 04CA9348
	v_max3_f32 v50, |v74|, |v75|, v50                          // 000000003A60: D1D30332 04CA974A
	v_max3_f32 v50, |v76|, |v77|, v50                          // 000000003A68: D1D30332 04CA9B4C
	v_max3_f32 v50, |v78|, |v79|, v50                          // 000000003A70: D1D30332 04CA9F4E
	s_nop 2                                                    // 000000003A78: BF800002
	v_rcp_f32_e32 v50, v50                                     // 000000003A7C: 7E644532
	s_nop 1                                                    // 000000003A80: BF800001
	v_mul_f32_e32 v50, 0x42fe0000, v50                         // 000000003A84: 0A6464FF 42FE0000
	v_mul_f32_e32 v88, v50, v160                               // 000000003A8C: 0AB14132
	v_mul_f32_e32 v89, v50, v161                               // 000000003A90: 0AB34332
	v_mul_f32_e32 v90, v50, v162                               // 000000003A94: 0AB54532
	v_mul_f32_e32 v91, v50, v163                               // 000000003A98: 0AB74732
	v_mul_f32_e32 v92, v50, v164                               // 000000003A9C: 0AB94932
	v_mul_f32_e32 v93, v50, v165                               // 000000003AA0: 0ABB4B32
	v_mul_f32_e32 v94, v50, v166                               // 000000003AA4: 0ABD4D32
	v_mul_f32_e32 v95, v50, v167                               // 000000003AA8: 0ABF4F32
	v_mul_f32_e32 v96, v50, v168                               // 000000003AAC: 0AC15132
	v_mul_f32_e32 v97, v50, v169                               // 000000003AB0: 0AC35332
	v_mul_f32_e32 v98, v50, v170                               // 000000003AB4: 0AC55532
	v_mul_f32_e32 v99, v50, v171                               // 000000003AB8: 0AC75732
	v_mul_f32_e32 v100, v50, v172                              // 000000003ABC: 0AC95932
	v_mul_f32_e32 v101, v50, v173                              // 000000003AC0: 0ACB5B32
	v_mul_f32_e32 v102, v50, v174                              // 000000003AC4: 0ACD5D32
	v_mul_f32_e32 v103, v50, v175                              // 000000003AC8: 0ACF5F32
	v_cvt_i32_f32_e32 v88, v88                                 // 000000003ACC: 7EB01158
	v_cvt_i32_f32_e32 v89, v89                                 // 000000003AD0: 7EB21159
	v_cvt_i32_f32_e32 v90, v90                                 // 000000003AD4: 7EB4115A
	v_cvt_i32_f32_e32 v91, v91                                 // 000000003AD8: 7EB6115B
	v_cvt_i32_f32_e32 v92, v92                                 // 000000003ADC: 7EB8115C
	v_cvt_i32_f32_e32 v93, v93                                 // 000000003AE0: 7EBA115D
	v_cvt_i32_f32_e32 v94, v94                                 // 000000003AE4: 7EBC115E
	v_cvt_i32_f32_e32 v95, v95                                 // 000000003AE8: 7EBE115F
	v_cvt_i32_f32_e32 v96, v96                                 // 000000003AEC: 7EC01160
	v_cvt_i32_f32_e32 v97, v97                                 // 000000003AF0: 7EC21161
	v_cvt_i32_f32_e32 v98, v98                                 // 000000003AF4: 7EC41162
	v_cvt_i32_f32_e32 v99, v99                                 // 000000003AF8: 7EC61163
	v_cvt_i32_f32_e32 v100, v100                               // 000000003AFC: 7EC81164
	v_cvt_i32_f32_e32 v101, v101                               // 000000003B00: 7ECA1165
	v_cvt_i32_f32_e32 v102, v102                               // 000000003B04: 7ECC1166
	v_cvt_i32_f32_e32 v103, v103                               // 000000003B08: 7ECE1167
	v_perm_b32 v88, v89, v88, s53                              // 000000003B0C: D1ED0058 00D6B159
	v_perm_b32 v88, v90, v88, s54                              // 000000003B14: D1ED0058 00DAB15A
	v_perm_b32 v88, v91, v88, s55                              // 000000003B1C: D1ED0058 00DEB15B
	v_perm_b32 v89, v93, v92, s53                              // 000000003B24: D1ED0059 00D6B95D
	v_perm_b32 v89, v94, v89, s54                              // 000000003B2C: D1ED0059 00DAB35E
	v_perm_b32 v89, v95, v89, s55                              // 000000003B34: D1ED0059 00DEB35F
	v_perm_b32 v90, v97, v96, s53                              // 000000003B3C: D1ED005A 00D6C161
	v_perm_b32 v90, v98, v90, s54                              // 000000003B44: D1ED005A 00DAB562
	v_perm_b32 v90, v99, v90, s55                              // 000000003B4C: D1ED005A 00DEB563
	v_perm_b32 v91, v101, v100, s53                            // 000000003B54: D1ED005B 00D6C965
	v_perm_b32 v91, v102, v91, s54                             // 000000003B5C: D1ED005B 00DAB766
	v_perm_b32 v91, v103, v91, s55                             // 000000003B64: D1ED005B 00DEB767
	ds_write_b32 v13, v88 offset:6272                          // 000000003B6C: D81A1880 0000580D
	ds_write_b32 v13, v89 offset:7296                          // 000000003B74: D81A1C80 0000590D
	ds_write_b32 v13, v90 offset:8320                          // 000000003B7C: D81A2080 00005A0D
	ds_write_b32 v13, v91 offset:9344                          // 000000003B84: D81A2480 00005B0D
	v_cvt_f32_i32_e32 v104, v104                               // 000000003B8C: 7ED00B68
	v_cvt_f32_i32_e32 v105, v105                               // 000000003B90: 7ED20B69
	v_cvt_f32_i32_e32 v106, v106                               // 000000003B94: 7ED40B6A
	v_cvt_f32_i32_e32 v107, v107                               // 000000003B98: 7ED60B6B
	v_cvt_f32_i32_e32 v108, v108                               // 000000003B9C: 7ED80B6C
	v_cvt_f32_i32_e32 v109, v109                               // 000000003BA0: 7EDA0B6D
	v_cvt_f32_i32_e32 v110, v110                               // 000000003BA4: 7EDC0B6E
	v_cvt_f32_i32_e32 v111, v111                               // 000000003BA8: 7EDE0B6F
	v_mul_f32_e32 v104, v49, v104                              // 000000003BAC: 0AD0D131
	v_mul_f32_e32 v105, v49, v105                              // 000000003BB0: 0AD2D331
	v_mul_f32_e32 v106, v49, v106                              // 000000003BB4: 0AD4D531
	v_mul_f32_e32 v107, v49, v107                              // 000000003BB8: 0AD6D731
	v_mul_f32_e32 v108, v49, v108                              // 000000003BBC: 0AD8D931
	v_mul_f32_e32 v109, v49, v109                              // 000000003BC0: 0ADADB31
	v_mul_f32_e32 v110, v49, v110                              // 000000003BC4: 0ADCDD31
	v_mul_f32_e32 v111, v49, v111                              // 000000003BC8: 0ADEDF31
	v_rcp_f32_e32 v49, v50                                     // 000000003BCC: 7E624532
	s_waitcnt lgkmcnt(0)                                       // 000000003BD0: BF8CC07F
	s_barrier                                                  // 000000003BD4: BF8A0000
	ds_read_b64 v[88:89], v12 offset:6272                      // 000000003BD8: D8EC1880 5800000C
	ds_read_b64 v[90:91], v12 offset:6400                      // 000000003BE0: D8EC1900 5A00000C
	ds_read_b64 v[92:93], v12 offset:7296                      // 000000003BE8: D8EC1C80 5C00000C
	ds_read_b64 v[94:95], v12 offset:7424                      // 000000003BF0: D8EC1D00 5E00000C
	ds_read_b64 v[96:97], v12 offset:8320                      // 000000003BF8: D8EC2080 6000000C
	ds_read_b64 v[98:99], v12 offset:8448                      // 000000003C00: D8EC2100 6200000C
	ds_read_b64 v[100:101], v12 offset:9344                    // 000000003C08: D8EC2480 6400000C
	ds_read_b64 v[102:103], v12 offset:9472                    // 000000003C10: D8EC2500 6600000C
	v_add_f32_e32 v112, v112, v104                             // 000000003C18: 02E0D170
	v_add_f32_e32 v113, v113, v105                             // 000000003C1C: 02E2D371
	v_add_f32_e32 v114, v114, v106                             // 000000003C20: 02E4D572
	v_add_f32_e32 v115, v115, v107                             // 000000003C24: 02E6D773
	v_add_f32_e32 v116, v116, v108                             // 000000003C28: 02E8D974
	v_add_f32_e32 v117, v117, v109                             // 000000003C2C: 02EADB75
	v_add_f32_e32 v118, v118, v110                             // 000000003C30: 02ECDD76
	v_add_f32_e32 v119, v119, v111                             // 000000003C34: 02EEDF77
	s_waitcnt vmcnt(15)                                        // 000000003C38: BF8C0F7F
	s_waitcnt lgkmcnt(7)                                       // 000000003C3C: BF8CC77F
	v_mfma_i32_16x16x32_i8 v[104:107], v[224:225], v[88:89], 0 // 000000003C40: D3D70068 0202B1E0
	s_waitcnt lgkmcnt(6)                                       // 000000003C48: BF8CC67F
	v_mfma_i32_16x16x32_i8 v[104:107], v[226:227], v[90:91], v[104:107]// 000000003C4C: D3D70068 05A2B5E2
	buffer_load_dwordx4 v[208:211], v30, s[20:23], 0 offen offset:1024// 000000003C54: E05C1400 8005D01E
	s_waitcnt lgkmcnt(5)                                       // 000000003C5C: BF8CC57F
	v_mfma_i32_16x16x32_i8 v[104:107], v[228:229], v[92:93], v[104:107]// 000000003C60: D3D70068 05A2B9E4
	s_waitcnt lgkmcnt(4)                                       // 000000003C68: BF8CC47F
	v_mfma_i32_16x16x32_i8 v[104:107], v[230:231], v[94:95], v[104:107]// 000000003C6C: D3D70068 05A2BDE6
	s_waitcnt lgkmcnt(3)                                       // 000000003C74: BF8CC37F
	v_mfma_i32_16x16x32_i8 v[104:107], v[232:233], v[96:97], v[104:107]// 000000003C78: D3D70068 05A2C1E8
	s_waitcnt lgkmcnt(2)                                       // 000000003C80: BF8CC27F
	v_mfma_i32_16x16x32_i8 v[104:107], v[234:235], v[98:99], v[104:107]// 000000003C84: D3D70068 05A2C5EA
	buffer_load_dwordx4 v[212:215], v31, s[20:23], 0 offen offset:1024// 000000003C8C: E05C1400 8005D41F
	s_waitcnt lgkmcnt(1)                                       // 000000003C94: BF8CC17F
	v_mfma_i32_16x16x32_i8 v[104:107], v[236:237], v[100:101], v[104:107]// 000000003C98: D3D70068 05A2C9EC
	s_waitcnt lgkmcnt(0)                                       // 000000003CA0: BF8CC07F
	v_mfma_i32_16x16x32_i8 v[104:107], v[238:239], v[102:103], v[104:107]// 000000003CA4: D3D70068 05A2CDEE
	v_mfma_i32_16x16x32_i8 v[108:111], v[240:241], v[88:89], 0 // 000000003CAC: D3D7006C 0202B1F0
	v_mfma_i32_16x16x32_i8 v[108:111], v[242:243], v[90:91], v[108:111]// 000000003CB4: D3D7006C 05B2B5F2
	buffer_load_dwordx4 v[216:219], v32, s[20:23], 0 offen offset:1024// 000000003CBC: E05C1400 8005D820
	v_mfma_i32_16x16x32_i8 v[108:111], v[244:245], v[92:93], v[108:111]// 000000003CC4: D3D7006C 05B2B9F4
	v_mfma_i32_16x16x32_i8 v[108:111], v[246:247], v[94:95], v[108:111]// 000000003CCC: D3D7006C 05B2BDF6
	v_mfma_i32_16x16x32_i8 v[108:111], v[248:249], v[96:97], v[108:111]// 000000003CD4: D3D7006C 05B2C1F8
	v_mfma_i32_16x16x32_i8 v[108:111], v[250:251], v[98:99], v[108:111]// 000000003CDC: D3D7006C 05B2C5FA
	buffer_load_dwordx4 v[220:223], v33, s[20:23], 0 offen offset:1024// 000000003CE4: E05C1400 8005DC21
	v_mfma_i32_16x16x32_i8 v[108:111], v[252:253], v[100:101], v[108:111]// 000000003CEC: D3D7006C 05B2C9FC
	s_lshr_b32 s57, s70, 4                                     // 000000003CF4: 8F398446
	s_add_u32 s57, 48, s57                                     // 000000003CF8: 803939B0
	v_mfma_i32_16x16x32_i8 v[108:111], v[254:255], v[102:103], v[108:111]// 000000003CFC: D3D7006C 05B2CDFE
	s_cmp_ge_u32 s57, s73                                      // 000000003D04: BF094939
	s_cselect_b32 s56, 0, s56                                  // 000000003D08: 85383880
	v_add_u32_e32 v1, s56, v1                                  // 000000003D0C: 68020238
	s_addk_i32 s70, 0x100                                      // 000000003D10: B7460100
	s_cmp_lt_i32 s70, s71                                      // 000000003D14: BF044746
	s_cbranch_scc0 label_0708                                  // 000000003D18: BF840001
	s_branch label_020F                                        // 000000003D1C: BF82FB07

0000000000003d20 <label_0708>:
	s_nop 0                                                    // 000000003D20: BF800000
	s_nop 0                                                    // 000000003D24: BF800000
	s_branch label_0C04                                        // 000000003D28: BF8204F9

0000000000003d2c <label_070B>:
	s_waitcnt vmcnt(8) lgkmcnt(0)                              // 000000003D2C: BF8C0078
	v_mul_u32_u24_dpp v38, v17, v53 row_newbcast:0 row_mask:0xf bank_mask:0xf// 000000003D30: 104C6AFA FF015011
	v_mul_u32_u24_dpp v39, v17, v53 row_newbcast:4 row_mask:0xf bank_mask:0xf// 000000003D38: 104E6AFA FF015411
	v_mul_u32_u24_dpp v40, v17, v53 row_newbcast:8 row_mask:0xf bank_mask:0xf// 000000003D40: 10506AFA FF015811
	v_mul_u32_u24_dpp v41, v17, v53 row_newbcast:12 row_mask:0xf bank_mask:0xf// 000000003D48: 10526AFA FF015C11
	v_add_u32_e32 v26, v38, v6                                 // 000000003D50: 68340D26
	v_add_u32_e32 v27, v39, v6                                 // 000000003D54: 68360D27
	v_add_u32_e32 v28, v40, v6                                 // 000000003D58: 68380D28
	v_add_u32_e32 v29, v41, v6                                 // 000000003D5C: 683A0D29
	v_mul_u32_u24_dpp v38, v17, v63 quad_perm:[0,0,0,0] row_mask:0xf bank_mask:0xf// 000000003D60: 104C7EFA FF000011
	v_add_u32_e32 v3, v38, v59                                 // 000000003D68: 68067726
	v_mul_u32_u24_dpp v38, v17, v63 quad_perm:[0,0,0,0] row_mask:0xf bank_mask:0xf// 000000003D6C: 104C7EFA FF000011
	v_add_u32_e32 v56, v38, v60                                // 000000003D74: 68707926
	v_mfma_i32_16x16x32_i8 v[88:91], v[128:129], v[80:81], 0   // 000000003D78: D3D70058 0202A180
	buffer_load_dwordx4 v[160:163], v26, s[16:19], 0 offen     // 000000003D80: E05C1000 8004A01A
	v_mfma_i32_16x16x32_i8 v[88:91], v[130:131], v[82:83], v[88:91]// 000000003D88: D3D70058 0562A582
	v_mfma_i32_16x16x32_i8 v[88:91], v[132:133], v[84:85], v[88:91]// 000000003D90: D3D70058 0562A984
	buffer_load_dword v16, v1, s[24:27], 0 offen               // 000000003D98: E0501000 80061001
	v_mfma_i32_16x16x32_i8 v[88:91], v[134:135], v[86:87], v[88:91]// 000000003DA0: D3D70058 0562AD86
	v_mfma_i32_16x16x32_i8 v[92:95], v[136:137], v[80:81], 0   // 000000003DA8: D3D7005C 0202A188
	buffer_load_dwordx4 v[164:167], v26, s[16:19], 0 offen offset:1024// 000000003DB0: E05C1400 8004A41A
	v_mfma_i32_16x16x32_i8 v[92:95], v[138:139], v[82:83], v[92:95]// 000000003DB8: D3D7005C 0572A58A
	v_mfma_i32_16x16x32_i8 v[92:95], v[140:141], v[84:85], v[92:95]// 000000003DC0: D3D7005C 0572A98C
	v_mfma_i32_16x16x32_i8 v[92:95], v[142:143], v[86:87], v[92:95]// 000000003DC8: D3D7005C 0572AD8E
	v_mfma_i32_16x16x32_i8 v[96:99], v[144:145], v[80:81], 0   // 000000003DD0: D3D70060 0202A190
	buffer_load_dwordx4 v[168:171], v27, s[16:19], 0 offen     // 000000003DD8: E05C1000 8004A81B
	v_mfma_i32_16x16x32_i8 v[96:99], v[146:147], v[82:83], v[96:99]// 000000003DE0: D3D70060 0582A592
	v_mfma_i32_16x16x32_i8 v[96:99], v[148:149], v[84:85], v[96:99]// 000000003DE8: D3D70060 0582A994
	v_mfma_i32_16x16x32_i8 v[96:99], v[150:151], v[86:87], v[96:99]// 000000003DF0: D3D70060 0582AD96
	v_mfma_i32_16x16x32_i8 v[100:103], v[152:153], v[80:81], 0 // 000000003DF8: D3D70064 0202A198
	buffer_load_dwordx4 v[172:175], v27, s[16:19], 0 offen offset:1024// 000000003E00: E05C1400 8004AC1B
	v_mfma_i32_16x16x32_i8 v[100:103], v[154:155], v[82:83], v[100:103]// 000000003E08: D3D70064 0592A59A
	v_mfma_i32_16x16x32_i8 v[100:103], v[156:157], v[84:85], v[100:103]// 000000003E10: D3D70064 0592A99C
	v_mfma_i32_16x16x32_i8 v[100:103], v[158:159], v[86:87], v[100:103]// 000000003E18: D3D70064 0592AD9E
	buffer_load_dword v47, v3, s[32:35], 0 offen               // 000000003E20: E0501000 80082F03
	v_mov_b32_dpp v38, v46 row_shr:4 row_mask:0xf bank_mask:0xf// 000000003E28: 7E4C02FA FF01142E
	v_mov_b32_dpp v39, v46 row_shl:4 row_mask:0xf bank_mask:0xf// 000000003E30: 7E4E02FA FF01042E
	v_cndmask_b32_e64 v120, v46, v38, s[44:45]                 // 000000003E38: D1000078 00B24D2E
	v_cndmask_b32_e64 v121, v39, v46, s[44:45]                 // 000000003E40: D1000079 00B25D27
	v_mov_b32_dpp v38, v120 row_shr:8 row_mask:0xf bank_mask:0xf// 000000003E48: 7E4C02FA FF011878
	v_mov_b32_dpp v39, v120 row_shl:8 row_mask:0xf bank_mask:0xf// 000000003E50: 7E4E02FA FF010878
	v_mov_b32_dpp v40, v121 row_shr:8 row_mask:0xf bank_mask:0xf// 000000003E58: 7E5002FA FF011879
	v_mov_b32_dpp v41, v121 row_shl:8 row_mask:0xf bank_mask:0xf// 000000003E60: 7E5202FA FF010879
	v_mov_b32_e32 v42, v120                                    // 000000003E68: 7E540378
	v_mov_b32_e32 v43, v121                                    // 000000003E6C: 7E560379
	v_cndmask_b32_e64 v120, v42, v38, s[42:43]                 // 000000003E70: D1000078 00AA4D2A
	v_cndmask_b32_e64 v122, v42, v39, s[78:79]                 // 000000003E78: D100007A 013A4F2A
	v_cndmask_b32_e64 v121, v43, v40, s[42:43]                 // 000000003E80: D1000079 00AA512B
	v_cndmask_b32_e64 v123, v43, v41, s[78:79]                 // 000000003E88: D100007B 013A532B
	v_mov_b32_dpp v38, v57 row_shr:4 row_mask:0xf bank_mask:0xf// 000000003E90: 7E4C02FA FF011439
	v_mov_b32_dpp v39, v57 row_shl:4 row_mask:0xf bank_mask:0xf// 000000003E98: 7E4E02FA FF010439
	v_cndmask_b32_e64 v124, v57, v38, s[44:45]                 // 000000003EA0: D100007C 00B24D39
	v_cndmask_b32_e64 v125, v39, v57, s[44:45]                 // 000000003EA8: D100007D 00B27327
	v_mov_b32_dpp v38, v124 row_shr:8 row_mask:0xf bank_mask:0xf// 000000003EB0: 7E4C02FA FF01187C
	v_mov_b32_dpp v39, v124 row_shl:8 row_mask:0xf bank_mask:0xf// 000000003EB8: 7E4E02FA FF01087C
	v_mov_b32_dpp v40, v125 row_shr:8 row_mask:0xf bank_mask:0xf// 000000003EC0: 7E5002FA FF01187D
	v_mov_b32_dpp v41, v125 row_shl:8 row_mask:0xf bank_mask:0xf// 000000003EC8: 7E5202FA FF01087D
	v_mov_b32_e32 v42, v124                                    // 000000003ED0: 7E54037C
	v_mov_b32_e32 v43, v125                                    // 000000003ED4: 7E56037D
	v_cndmask_b32_e64 v124, v42, v38, s[42:43]                 // 000000003ED8: D100007C 00AA4D2A
	v_cndmask_b32_e64 v126, v42, v39, s[78:79]                 // 000000003EE0: D100007E 013A4F2A
	v_cndmask_b32_e64 v125, v43, v40, s[42:43]                 // 000000003EE8: D100007D 00AA512B
	v_cndmask_b32_e64 v127, v43, v41, s[78:79]                 // 000000003EF0: D100007F 013A532B
	buffer_load_dword v58, v56, s[36:39], 0 offen              // 000000003EF8: E0501000 80093A38
	v_cvt_f32_i32_e32 v88, v88                                 // 000000003F00: 7EB00B58
	v_cvt_f32_i32_e32 v89, v89                                 // 000000003F04: 7EB20B59
	v_cvt_f32_i32_e32 v90, v90                                 // 000000003F08: 7EB40B5A
	v_cvt_f32_i32_e32 v91, v91                                 // 000000003F0C: 7EB60B5B
	v_cvt_f32_i32_e32 v92, v92                                 // 000000003F10: 7EB80B5C
	v_cvt_f32_i32_e32 v93, v93                                 // 000000003F14: 7EBA0B5D
	v_cvt_f32_i32_e32 v94, v94                                 // 000000003F18: 7EBC0B5E
	v_cvt_f32_i32_e32 v95, v95                                 // 000000003F1C: 7EBE0B5F
	v_cvt_f32_i32_e32 v96, v96                                 // 000000003F20: 7EC00B60
	v_cvt_f32_i32_e32 v97, v97                                 // 000000003F24: 7EC20B61
	v_cvt_f32_i32_e32 v98, v98                                 // 000000003F28: 7EC40B62
	v_cvt_f32_i32_e32 v99, v99                                 // 000000003F2C: 7EC60B63
	v_cvt_f32_i32_e32 v100, v100                               // 000000003F30: 7EC80B64
	v_cvt_f32_i32_e32 v101, v101                               // 000000003F34: 7ECA0B65
	v_cvt_f32_i32_e32 v102, v102                               // 000000003F38: 7ECC0B66
	v_cvt_f32_i32_e32 v103, v103                               // 000000003F3C: 7ECE0B67
	v_mul_f32_e32 v88, v48, v88                                // 000000003F40: 0AB0B130
	v_mul_f32_e32 v89, v48, v89                                // 000000003F44: 0AB2B330
	v_mul_f32_e32 v90, v48, v90                                // 000000003F48: 0AB4B530
	v_mul_f32_e32 v91, v48, v91                                // 000000003F4C: 0AB6B730
	v_mul_f32_e32 v92, v48, v92                                // 000000003F50: 0AB8B930
	v_mul_f32_e32 v93, v48, v93                                // 000000003F54: 0ABABB30
	v_mul_f32_e32 v94, v48, v94                                // 000000003F58: 0ABCBD30
	v_mul_f32_e32 v95, v48, v95                                // 000000003F5C: 0ABEBF30
	v_mul_f32_e32 v96, v48, v96                                // 000000003F60: 0AC0C130
	v_mul_f32_e32 v97, v48, v97                                // 000000003F64: 0AC2C330
	v_mul_f32_e32 v98, v48, v98                                // 000000003F68: 0AC4C530
	v_mul_f32_e32 v99, v48, v99                                // 000000003F6C: 0AC6C730
	v_mul_f32_e32 v100, v48, v100                              // 000000003F70: 0AC8C930
	v_mul_f32_e32 v101, v48, v101                              // 000000003F74: 0ACACB30
	v_mul_f32_e32 v102, v48, v102                              // 000000003F78: 0ACCCD30
	v_mul_f32_e32 v103, v48, v103                              // 000000003F7C: 0ACECF30
	buffer_load_dwordx4 v[176:179], v28, s[16:19], 0 offen     // 000000003F80: E05C1000 8004B01C
	v_mul_f32_dpp v88, v120, v88 quad_perm:[0,0,0,0] row_mask:0xf bank_mask:0xf// 000000003F88: 0AB0B0FA FF000078
	v_mul_f32_dpp v89, v120, v89 quad_perm:[1,1,1,1] row_mask:0xf bank_mask:0xf// 000000003F90: 0AB2B2FA FF005578
	v_mul_f32_dpp v90, v120, v90 quad_perm:[2,2,2,2] row_mask:0xf bank_mask:0xf// 000000003F98: 0AB4B4FA FF00AA78
	v_mul_f32_dpp v91, v120, v91 quad_perm:[3,3,3,3] row_mask:0xf bank_mask:0xf// 000000003FA0: 0AB6B6FA FF00FF78
	v_mul_f32_dpp v92, v121, v92 quad_perm:[0,0,0,0] row_mask:0xf bank_mask:0xf// 000000003FA8: 0AB8B8FA FF000079
	v_mul_f32_dpp v93, v121, v93 quad_perm:[1,1,1,1] row_mask:0xf bank_mask:0xf// 000000003FB0: 0ABABAFA FF005579
	v_mul_f32_dpp v94, v121, v94 quad_perm:[2,2,2,2] row_mask:0xf bank_mask:0xf// 000000003FB8: 0ABCBCFA FF00AA79
	v_mul_f32_dpp v95, v121, v95 quad_perm:[3,3,3,3] row_mask:0xf bank_mask:0xf// 000000003FC0: 0ABEBEFA FF00FF79
	v_mul_f32_dpp v96, v122, v96 quad_perm:[0,0,0,0] row_mask:0xf bank_mask:0xf// 000000003FC8: 0AC0C0FA FF00007A
	v_mul_f32_dpp v97, v122, v97 quad_perm:[1,1,1,1] row_mask:0xf bank_mask:0xf// 000000003FD0: 0AC2C2FA FF00557A
	v_mul_f32_dpp v98, v122, v98 quad_perm:[2,2,2,2] row_mask:0xf bank_mask:0xf// 000000003FD8: 0AC4C4FA FF00AA7A
	v_mul_f32_dpp v99, v122, v99 quad_perm:[3,3,3,3] row_mask:0xf bank_mask:0xf// 000000003FE0: 0AC6C6FA FF00FF7A
	v_mul_f32_dpp v100, v123, v100 quad_perm:[0,0,0,0] row_mask:0xf bank_mask:0xf// 000000003FE8: 0AC8C8FA FF00007B
	v_mul_f32_dpp v101, v123, v101 quad_perm:[1,1,1,1] row_mask:0xf bank_mask:0xf// 000000003FF0: 0ACACAFA FF00557B
	v_mul_f32_dpp v102, v123, v102 quad_perm:[2,2,2,2] row_mask:0xf bank_mask:0xf// 000000003FF8: 0ACCCCFA FF00AA7B
	v_mul_f32_dpp v103, v123, v103 quad_perm:[3,3,3,3] row_mask:0xf bank_mask:0xf// 000000004000: 0ACECEFA FF00FF7B
	buffer_load_dwordx4 v[180:183], v28, s[16:19], 0 offen offset:1024// 000000004008: E05C1400 8004B41C
	v_mov_b32_e32 v50, v88                                     // 000000004010: 7E640358
	v_max3_f32 v50, v88, v89, v50                              // 000000004014: D1D30032 04CAB358
	v_max3_f32 v50, v90, v91, v50                              // 00000000401C: D1D30032 04CAB75A
	v_max3_f32 v50, v92, v93, v50                              // 000000004024: D1D30032 04CABB5C
	v_max3_f32 v50, v94, v95, v50                              // 00000000402C: D1D30032 04CABF5E
	v_max3_f32 v50, v96, v97, v50                              // 000000004034: D1D30032 04CAC360
	v_max3_f32 v50, v98, v99, v50                              // 00000000403C: D1D30032 04CAC762
	v_max3_f32 v50, v100, v101, v50                            // 000000004044: D1D30032 04CACB64
	v_max3_f32 v50, v102, v103, v50                            // 00000000404C: D1D30032 04CACF66
	ds_write_b32 v11, v50 offset:4224                          // 000000004054: D81A1080 0000320B
	buffer_load_dwordx4 v[184:187], v29, s[16:19], 0 offen     // 00000000405C: E05C1000 8004B81D
	v_mul_u32_u24_dpp v38, v17, v53 row_newbcast:1 row_mask:0xf bank_mask:0xf// 000000004064: 104C6AFA FF015111
	v_mul_u32_u24_dpp v39, v17, v53 row_newbcast:5 row_mask:0xf bank_mask:0xf// 00000000406C: 104E6AFA FF015511
	v_mul_u32_u24_dpp v40, v17, v53 row_newbcast:9 row_mask:0xf bank_mask:0xf// 000000004074: 10506AFA FF015911
	v_mul_u32_u24_dpp v41, v17, v53 row_newbcast:13 row_mask:0xf bank_mask:0xf// 00000000407C: 10526AFA FF015D11
	v_add_u32_e32 v34, v38, v7                                 // 000000004084: 68440F26
	v_add_u32_e32 v35, v39, v7                                 // 000000004088: 68460F27
	v_add_u32_e32 v36, v40, v7                                 // 00000000408C: 68480F28
	v_add_u32_e32 v37, v41, v7                                 // 000000004090: 684A0F29
	s_waitcnt lgkmcnt(0)                                       // 000000004094: BF8CC07F
	s_barrier                                                  // 000000004098: BF8A0000
	ds_read_b32 v64, v10 offset:4224                           // 00000000409C: D86C1080 4000000A
	ds_read_b32 v65, v10 offset:4288                           // 0000000040A4: D86C10C0 4100000A
	ds_read_b32 v66, v10 offset:4352                           // 0000000040AC: D86C1100 4200000A
	ds_read_b32 v67, v10 offset:4416                           // 0000000040B4: D86C1140 4300000A
	ds_read_b32 v68, v10 offset:4480                           // 0000000040BC: D86C1180 4400000A
	ds_read_b32 v69, v10 offset:4544                           // 0000000040C4: D86C11C0 4500000A
	ds_read_b32 v70, v10 offset:4608                           // 0000000040CC: D86C1200 4600000A
	ds_read_b32 v71, v10 offset:4672                           // 0000000040D4: D86C1240 4700000A
	ds_read_b32 v72, v10 offset:4736                           // 0000000040DC: D86C1280 4800000A
	ds_read_b32 v73, v10 offset:4800                           // 0000000040E4: D86C12C0 4900000A
	ds_read_b32 v74, v10 offset:4864                           // 0000000040EC: D86C1300 4A00000A
	ds_read_b32 v75, v10 offset:4928                           // 0000000040F4: D86C1340 4B00000A
	ds_read_b32 v76, v10 offset:4992                           // 0000000040FC: D86C1380 4C00000A
	ds_read_b32 v77, v10 offset:5056                           // 000000004104: D86C13C0 4D00000A
	ds_read_b32 v78, v10 offset:5120                           // 00000000410C: D86C1400 4E00000A
	ds_read_b32 v79, v10 offset:5184                           // 000000004114: D86C1440 4F00000A
	buffer_load_dwordx4 v[188:191], v29, s[16:19], 0 offen offset:1024// 00000000411C: E05C1400 8004BC1D
	v_mul_f32_e32 v112, v51, v112                              // 000000004124: 0AE0E133
	v_mul_f32_e32 v113, v51, v113                              // 000000004128: 0AE2E333
	v_mul_f32_e32 v114, v51, v114                              // 00000000412C: 0AE4E533
	v_mul_f32_e32 v115, v51, v115                              // 000000004130: 0AE6E733
	v_mul_f32_e32 v116, v51, v116                              // 000000004134: 0AE8E933
	v_mul_f32_e32 v117, v51, v117                              // 000000004138: 0AEAEB33
	v_mul_f32_e32 v118, v51, v118                              // 00000000413C: 0AECED33
	v_mul_f32_e32 v119, v51, v119                              // 000000004140: 0AEEEF33
	s_waitcnt lgkmcnt(0)                                       // 000000004144: BF8CC07F
	v_max3_f32 v50, v64, v65, v50                              // 000000004148: D1D30032 04CA8340
	v_max3_f32 v50, v66, v67, v50                              // 000000004150: D1D30032 04CA8742
	v_max3_f32 v50, v68, v69, v50                              // 000000004158: D1D30032 04CA8B44
	v_max3_f32 v50, v70, v71, v50                              // 000000004160: D1D30032 04CA8F46
	v_max3_f32 v50, v72, v73, v50                              // 000000004168: D1D30032 04CA9348
	v_max3_f32 v50, v74, v75, v50                              // 000000004170: D1D30032 04CA974A
	v_max3_f32 v50, v76, v77, v50                              // 000000004178: D1D30032 04CA9B4C
	v_max3_f32 v50, v78, v79, v50                              // 000000004180: D1D30032 04CA9F4E
	buffer_load_dwordx4 v[224:227], v34, s[20:23], 0 offen     // 000000004188: E05C1000 8005E022
	v_cmp_eq_u32_e64 s[40:41], v54, v14                        // 000000004190: D0CA0028 00021D36
	s_nop 1                                                    // 000000004198: BF800001
	v_max_f32_e32 v15, v50, v14                                // 00000000419C: 161E1D32
	v_mul_f32_e32 v52, s64, v15                                // 0000000041A0: 0A681E40
	v_fma_f32 v88, v88, s64, -v52                              // 0000000041A4: D1CB0058 84D08158
	v_fma_f32 v89, v89, s64, -v52                              // 0000000041AC: D1CB0059 84D08159
	v_fma_f32 v90, v90, s64, -v52                              // 0000000041B4: D1CB005A 84D0815A
	v_fma_f32 v91, v91, s64, -v52                              // 0000000041BC: D1CB005B 84D0815B
	v_fma_f32 v92, v92, s64, -v52                              // 0000000041C4: D1CB005C 84D0815C
	v_fma_f32 v93, v93, s64, -v52                              // 0000000041CC: D1CB005D 84D0815D
	v_fma_f32 v94, v94, s64, -v52                              // 0000000041D4: D1CB005E 84D0815E
	v_fma_f32 v95, v95, s64, -v52                              // 0000000041DC: D1CB005F 84D0815F
	v_fma_f32 v96, v96, s64, -v52                              // 0000000041E4: D1CB0060 84D08160
	v_fma_f32 v97, v97, s64, -v52                              // 0000000041EC: D1CB0061 84D08161
	v_fma_f32 v98, v98, s64, -v52                              // 0000000041F4: D1CB0062 84D08162
	v_fma_f32 v99, v99, s64, -v52                              // 0000000041FC: D1CB0063 84D08163
	v_fma_f32 v100, v100, s64, -v52                            // 000000004204: D1CB0064 84D08164
	v_fma_f32 v101, v101, s64, -v52                            // 00000000420C: D1CB0065 84D08165
	v_fma_f32 v102, v102, s64, -v52                            // 000000004214: D1CB0066 84D08166
	v_fma_f32 v103, v103, s64, -v52                            // 00000000421C: D1CB0067 84D08167
	buffer_load_dwordx4 v[228:231], v35, s[20:23], 0 offen     // 000000004224: E05C1000 8005E423
	v_exp_f32_e32 v88, v88                                     // 00000000422C: 7EB04158
	v_exp_f32_e32 v89, v89                                     // 000000004230: 7EB24159
	v_exp_f32_e32 v90, v90                                     // 000000004234: 7EB4415A
	v_exp_f32_e32 v91, v91                                     // 000000004238: 7EB6415B
	v_exp_f32_e32 v92, v92                                     // 00000000423C: 7EB8415C
	v_exp_f32_e32 v93, v93                                     // 000000004240: 7EBA415D
	v_exp_f32_e32 v94, v94                                     // 000000004244: 7EBC415E
	v_exp_f32_e32 v95, v95                                     // 000000004248: 7EBE415F
	v_exp_f32_e32 v96, v96                                     // 00000000424C: 7EC04160
	v_exp_f32_e32 v97, v97                                     // 000000004250: 7EC24161
	v_exp_f32_e32 v98, v98                                     // 000000004254: 7EC44162
	v_exp_f32_e32 v99, v99                                     // 000000004258: 7EC64163
	v_exp_f32_e32 v100, v100                                   // 00000000425C: 7EC84164
	v_exp_f32_e32 v101, v101                                   // 000000004260: 7ECA4165
	v_exp_f32_e32 v102, v102                                   // 000000004264: 7ECC4166
	v_exp_f32_e32 v103, v103                                   // 000000004268: 7ECE4167
	buffer_load_dwordx4 v[232:235], v36, s[20:23], 0 offen     // 00000000426C: E05C1000 8005E824
	v_mul_f32_dpp v128, v124, v88 quad_perm:[0,0,0,0] row_mask:0xf bank_mask:0xf// 000000004274: 0B00B0FA FF00007C
	v_mul_f32_dpp v129, v124, v89 quad_perm:[1,1,1,1] row_mask:0xf bank_mask:0xf// 00000000427C: 0B02B2FA FF00557C
	v_mul_f32_dpp v130, v124, v90 quad_perm:[2,2,2,2] row_mask:0xf bank_mask:0xf// 000000004284: 0B04B4FA FF00AA7C
	v_mul_f32_dpp v131, v124, v91 quad_perm:[3,3,3,3] row_mask:0xf bank_mask:0xf// 00000000428C: 0B06B6FA FF00FF7C
	v_mul_f32_dpp v132, v125, v92 quad_perm:[0,0,0,0] row_mask:0xf bank_mask:0xf// 000000004294: 0B08B8FA FF00007D
	v_mul_f32_dpp v133, v125, v93 quad_perm:[1,1,1,1] row_mask:0xf bank_mask:0xf// 00000000429C: 0B0ABAFA FF00557D
	v_mul_f32_dpp v134, v125, v94 quad_perm:[2,2,2,2] row_mask:0xf bank_mask:0xf// 0000000042A4: 0B0CBCFA FF00AA7D
	v_mul_f32_dpp v135, v125, v95 quad_perm:[3,3,3,3] row_mask:0xf bank_mask:0xf// 0000000042AC: 0B0EBEFA FF00FF7D
	v_mul_f32_dpp v136, v126, v96 quad_perm:[0,0,0,0] row_mask:0xf bank_mask:0xf// 0000000042B4: 0B10C0FA FF00007E
	v_mul_f32_dpp v137, v126, v97 quad_perm:[1,1,1,1] row_mask:0xf bank_mask:0xf// 0000000042BC: 0B12C2FA FF00557E
	v_mul_f32_dpp v138, v126, v98 quad_perm:[2,2,2,2] row_mask:0xf bank_mask:0xf// 0000000042C4: 0B14C4FA FF00AA7E
	v_mul_f32_dpp v139, v126, v99 quad_perm:[3,3,3,3] row_mask:0xf bank_mask:0xf// 0000000042CC: 0B16C6FA FF00FF7E
	v_mul_f32_dpp v140, v127, v100 quad_perm:[0,0,0,0] row_mask:0xf bank_mask:0xf// 0000000042D4: 0B18C8FA FF00007F
	v_mul_f32_dpp v141, v127, v101 quad_perm:[1,1,1,1] row_mask:0xf bank_mask:0xf// 0000000042DC: 0B1ACAFA FF00557F
	v_mul_f32_dpp v142, v127, v102 quad_perm:[2,2,2,2] row_mask:0xf bank_mask:0xf// 0000000042E4: 0B1CCCFA FF00AA7F
	v_mul_f32_dpp v143, v127, v103 quad_perm:[3,3,3,3] row_mask:0xf bank_mask:0xf// 0000000042EC: 0B1ECEFA FF00FF7F
	v_mov_b32_e32 v50, 0x358637bd                              // 0000000042F4: 7E6402FF 358637BD
	v_max3_f32 v50, |v128|, |v129|, v50                        // 0000000042FC: D1D30332 04CB0380
	v_max3_f32 v50, |v130|, |v131|, v50                        // 000000004304: D1D30332 04CB0782
	v_max3_f32 v50, |v132|, |v133|, v50                        // 00000000430C: D1D30332 04CB0B84
	v_max3_f32 v50, |v134|, |v135|, v50                        // 000000004314: D1D30332 04CB0F86
	v_max3_f32 v50, |v136|, |v137|, v50                        // 00000000431C: D1D30332 04CB1388
	v_max3_f32 v50, |v138|, |v139|, v50                        // 000000004324: D1D30332 04CB178A
	v_max3_f32 v50, |v140|, |v141|, v50                        // 00000000432C: D1D30332 04CB1B8C
	v_max3_f32 v50, |v142|, |v143|, v50                        // 000000004334: D1D30332 04CB1F8E
	buffer_load_dwordx4 v[236:239], v37, s[20:23], 0 offen     // 00000000433C: E05C1000 8005EC25
	ds_write_b32 v11, v50 offset:5248                          // 000000004344: D81A1480 0000320B
	v_sub_f32_e32 v51, v14, v15                                // 00000000434C: 04661F0E
	v_cndmask_b32_e64 v51, v51, 0, s[40:41]                    // 000000004350: D1000033 00A10133
	v_mov_b32_e32 v14, v15                                     // 000000004358: 7E1C030F
	v_mul_f32_e32 v51, s64, v51                                // 00000000435C: 0A666640
	v_exp_f32_e32 v51, v51                                     // 000000004360: 7E664133
	s_waitcnt lgkmcnt(0)                                       // 000000004364: BF8CC07F
	s_barrier                                                  // 000000004368: BF8A0000
	ds_read_b32 v64, v10 offset:5248                           // 00000000436C: D86C1480 4000000A
	ds_read_b32 v65, v10 offset:5312                           // 000000004374: D86C14C0 4100000A
	ds_read_b32 v66, v10 offset:5376                           // 00000000437C: D86C1500 4200000A
	ds_read_b32 v67, v10 offset:5440                           // 000000004384: D86C1540 4300000A
	ds_read_b32 v68, v10 offset:5504                           // 00000000438C: D86C1580 4400000A
	ds_read_b32 v69, v10 offset:5568                           // 000000004394: D86C15C0 4500000A
	ds_read_b32 v70, v10 offset:5632                           // 00000000439C: D86C1600 4600000A
	ds_read_b32 v71, v10 offset:5696                           // 0000000043A4: D86C1640 4700000A
	ds_read_b32 v72, v10 offset:5760                           // 0000000043AC: D86C1680 4800000A
	ds_read_b32 v73, v10 offset:5824                           // 0000000043B4: D86C16C0 4900000A
	ds_read_b32 v74, v10 offset:5888                           // 0000000043BC: D86C1700 4A00000A
	ds_read_b32 v75, v10 offset:5952                           // 0000000043C4: D86C1740 4B00000A
	ds_read_b32 v76, v10 offset:6016                           // 0000000043CC: D86C1780 4C00000A
	ds_read_b32 v77, v10 offset:6080                           // 0000000043D4: D86C17C0 4D00000A
	ds_read_b32 v78, v10 offset:6144                           // 0000000043DC: D86C1800 4E00000A
	ds_read_b32 v79, v10 offset:6208                           // 0000000043E4: D86C1840 4F00000A
	v_mul_f32_e32 v44, v51, v44                                // 0000000043EC: 0A585933
	v_mov_b32_e32 v45, v88                                     // 0000000043F0: 7E5A0358
	v_add_f32_e32 v45, v89, v45                                // 0000000043F4: 025A5B59
	v_add_f32_e32 v45, v90, v45                                // 0000000043F8: 025A5B5A
	v_add_f32_e32 v45, v91, v45                                // 0000000043FC: 025A5B5B
	v_add_f32_e32 v45, v92, v45                                // 000000004400: 025A5B5C
	v_add_f32_e32 v45, v93, v45                                // 000000004404: 025A5B5D
	v_add_f32_e32 v45, v94, v45                                // 000000004408: 025A5B5E
	v_add_f32_e32 v45, v95, v45                                // 00000000440C: 025A5B5F
	v_add_f32_e32 v45, v96, v45                                // 000000004410: 025A5B60
	v_add_f32_e32 v45, v97, v45                                // 000000004414: 025A5B61
	v_add_f32_e32 v45, v98, v45                                // 000000004418: 025A5B62
	v_add_f32_e32 v45, v99, v45                                // 00000000441C: 025A5B63
	v_add_f32_e32 v45, v100, v45                               // 000000004420: 025A5B64
	v_add_f32_e32 v45, v101, v45                               // 000000004424: 025A5B65
	v_add_f32_e32 v45, v102, v45                               // 000000004428: 025A5B66
	v_add_f32_e32 v45, v103, v45                               // 00000000442C: 025A5B67
	v_add_f32_e32 v44, v45, v44                                // 000000004430: 0258592D
	s_waitcnt lgkmcnt(0)                                       // 000000004434: BF8CC07F
	v_max3_f32 v50, |v64|, |v65|, v50                          // 000000004438: D1D30332 04CA8340
	v_max3_f32 v50, |v66|, |v67|, v50                          // 000000004440: D1D30332 04CA8742
	v_max3_f32 v50, |v68|, |v69|, v50                          // 000000004448: D1D30332 04CA8B44
	v_max3_f32 v50, |v70|, |v71|, v50                          // 000000004450: D1D30332 04CA8F46
	v_max3_f32 v50, |v72|, |v73|, v50                          // 000000004458: D1D30332 04CA9348
	v_max3_f32 v50, |v74|, |v75|, v50                          // 000000004460: D1D30332 04CA974A
	v_max3_f32 v50, |v76|, |v77|, v50                          // 000000004468: D1D30332 04CA9B4C
	v_max3_f32 v50, |v78|, |v79|, v50                          // 000000004470: D1D30332 04CA9F4E
	s_nop 2                                                    // 000000004478: BF800002
	v_rcp_f32_e32 v50, v50                                     // 00000000447C: 7E644532
	s_nop 1                                                    // 000000004480: BF800001
	v_mul_f32_e32 v50, 0x42fe0000, v50                         // 000000004484: 0A6464FF 42FE0000
	v_mul_f32_e32 v88, v50, v128                               // 00000000448C: 0AB10132
	v_mul_f32_e32 v89, v50, v129                               // 000000004490: 0AB30332
	v_mul_f32_e32 v90, v50, v130                               // 000000004494: 0AB50532
	v_mul_f32_e32 v91, v50, v131                               // 000000004498: 0AB70732
	v_mul_f32_e32 v92, v50, v132                               // 00000000449C: 0AB90932
	v_mul_f32_e32 v93, v50, v133                               // 0000000044A0: 0ABB0B32
	v_mul_f32_e32 v94, v50, v134                               // 0000000044A4: 0ABD0D32
	v_mul_f32_e32 v95, v50, v135                               // 0000000044A8: 0ABF0F32
	v_mul_f32_e32 v96, v50, v136                               // 0000000044AC: 0AC11132
	v_mul_f32_e32 v97, v50, v137                               // 0000000044B0: 0AC31332
	v_mul_f32_e32 v98, v50, v138                               // 0000000044B4: 0AC51532
	v_mul_f32_e32 v99, v50, v139                               // 0000000044B8: 0AC71732
	v_mul_f32_e32 v100, v50, v140                              // 0000000044BC: 0AC91932
	v_mul_f32_e32 v101, v50, v141                              // 0000000044C0: 0ACB1B32
	v_mul_f32_e32 v102, v50, v142                              // 0000000044C4: 0ACD1D32
	v_mul_f32_e32 v103, v50, v143                              // 0000000044C8: 0ACF1F32
	v_cvt_i32_f32_e32 v88, v88                                 // 0000000044CC: 7EB01158
	v_cvt_i32_f32_e32 v89, v89                                 // 0000000044D0: 7EB21159
	v_cvt_i32_f32_e32 v90, v90                                 // 0000000044D4: 7EB4115A
	v_cvt_i32_f32_e32 v91, v91                                 // 0000000044D8: 7EB6115B
	v_cvt_i32_f32_e32 v92, v92                                 // 0000000044DC: 7EB8115C
	v_cvt_i32_f32_e32 v93, v93                                 // 0000000044E0: 7EBA115D
	v_cvt_i32_f32_e32 v94, v94                                 // 0000000044E4: 7EBC115E
	v_cvt_i32_f32_e32 v95, v95                                 // 0000000044E8: 7EBE115F
	v_cvt_i32_f32_e32 v96, v96                                 // 0000000044EC: 7EC01160
	v_cvt_i32_f32_e32 v97, v97                                 // 0000000044F0: 7EC21161
	v_cvt_i32_f32_e32 v98, v98                                 // 0000000044F4: 7EC41162
	v_cvt_i32_f32_e32 v99, v99                                 // 0000000044F8: 7EC61163
	v_cvt_i32_f32_e32 v100, v100                               // 0000000044FC: 7EC81164
	v_cvt_i32_f32_e32 v101, v101                               // 000000004500: 7ECA1165
	v_cvt_i32_f32_e32 v102, v102                               // 000000004504: 7ECC1166
	v_cvt_i32_f32_e32 v103, v103                               // 000000004508: 7ECE1167
	v_perm_b32 v88, v89, v88, s53                              // 00000000450C: D1ED0058 00D6B159
	v_perm_b32 v88, v90, v88, s54                              // 000000004514: D1ED0058 00DAB15A
	v_perm_b32 v88, v91, v88, s55                              // 00000000451C: D1ED0058 00DEB15B
	v_perm_b32 v89, v93, v92, s53                              // 000000004524: D1ED0059 00D6B95D
	v_perm_b32 v89, v94, v89, s54                              // 00000000452C: D1ED0059 00DAB35E
	v_perm_b32 v89, v95, v89, s55                              // 000000004534: D1ED0059 00DEB35F
	v_perm_b32 v90, v97, v96, s53                              // 00000000453C: D1ED005A 00D6C161
	v_perm_b32 v90, v98, v90, s54                              // 000000004544: D1ED005A 00DAB562
	v_perm_b32 v90, v99, v90, s55                              // 00000000454C: D1ED005A 00DEB563
	v_perm_b32 v91, v101, v100, s53                            // 000000004554: D1ED005B 00D6C965
	v_perm_b32 v91, v102, v91, s54                             // 00000000455C: D1ED005B 00DAB766
	v_perm_b32 v91, v103, v91, s55                             // 000000004564: D1ED005B 00DEB767
	ds_write_b32 v13, v88 offset:6272                          // 00000000456C: D81A1880 0000580D
	ds_write_b32 v13, v89 offset:7296                          // 000000004574: D81A1C80 0000590D
	ds_write_b32 v13, v90 offset:8320                          // 00000000457C: D81A2080 00005A0D
	ds_write_b32 v13, v91 offset:9344                          // 000000004584: D81A2480 00005B0D
	v_cvt_f32_i32_e32 v104, v104                               // 00000000458C: 7ED00B68
	v_cvt_f32_i32_e32 v105, v105                               // 000000004590: 7ED20B69
	v_cvt_f32_i32_e32 v106, v106                               // 000000004594: 7ED40B6A
	v_cvt_f32_i32_e32 v107, v107                               // 000000004598: 7ED60B6B
	v_cvt_f32_i32_e32 v108, v108                               // 00000000459C: 7ED80B6C
	v_cvt_f32_i32_e32 v109, v109                               // 0000000045A0: 7EDA0B6D
	v_cvt_f32_i32_e32 v110, v110                               // 0000000045A4: 7EDC0B6E
	v_cvt_f32_i32_e32 v111, v111                               // 0000000045A8: 7EDE0B6F
	v_mul_f32_e32 v104, v49, v104                              // 0000000045AC: 0AD0D131
	v_mul_f32_e32 v105, v49, v105                              // 0000000045B0: 0AD2D331
	v_mul_f32_e32 v106, v49, v106                              // 0000000045B4: 0AD4D531
	v_mul_f32_e32 v107, v49, v107                              // 0000000045B8: 0AD6D731
	v_mul_f32_e32 v108, v49, v108                              // 0000000045BC: 0AD8D931
	v_mul_f32_e32 v109, v49, v109                              // 0000000045C0: 0ADADB31
	v_mul_f32_e32 v110, v49, v110                              // 0000000045C4: 0ADCDD31
	v_mul_f32_e32 v111, v49, v111                              // 0000000045C8: 0ADEDF31
	v_rcp_f32_e32 v49, v50                                     // 0000000045CC: 7E624532
	s_waitcnt lgkmcnt(0)                                       // 0000000045D0: BF8CC07F
	s_barrier                                                  // 0000000045D4: BF8A0000
	ds_read_b64 v[88:89], v12 offset:6272                      // 0000000045D8: D8EC1880 5800000C
	ds_read_b64 v[90:91], v12 offset:6400                      // 0000000045E0: D8EC1900 5A00000C
	ds_read_b64 v[92:93], v12 offset:7296                      // 0000000045E8: D8EC1C80 5C00000C
	ds_read_b64 v[94:95], v12 offset:7424                      // 0000000045F0: D8EC1D00 5E00000C
	ds_read_b64 v[96:97], v12 offset:8320                      // 0000000045F8: D8EC2080 6000000C
	ds_read_b64 v[98:99], v12 offset:8448                      // 000000004600: D8EC2100 6200000C
	ds_read_b64 v[100:101], v12 offset:9344                    // 000000004608: D8EC2480 6400000C
	ds_read_b64 v[102:103], v12 offset:9472                    // 000000004610: D8EC2500 6600000C
	v_add_f32_e32 v112, v112, v104                             // 000000004618: 02E0D170
	v_add_f32_e32 v113, v113, v105                             // 00000000461C: 02E2D371
	v_add_f32_e32 v114, v114, v106                             // 000000004620: 02E4D572
	v_add_f32_e32 v115, v115, v107                             // 000000004624: 02E6D773
	v_add_f32_e32 v116, v116, v108                             // 000000004628: 02E8D974
	v_add_f32_e32 v117, v117, v109                             // 00000000462C: 02EADB75
	v_add_f32_e32 v118, v118, v110                             // 000000004630: 02ECDD76
	v_add_f32_e32 v119, v119, v111                             // 000000004634: 02EEDF77
	s_waitcnt vmcnt(15)                                        // 000000004638: BF8C0F7F
	s_waitcnt lgkmcnt(7)                                       // 00000000463C: BF8CC77F
	v_mfma_i32_16x16x32_i8 v[104:107], v[192:193], v[88:89], 0 // 000000004640: D3D70068 0202B1C0
	buffer_load_dwordx4 v[240:243], v34, s[20:23], 0 offen offset:1024// 000000004648: E05C1400 8005F022
	s_waitcnt lgkmcnt(6)                                       // 000000004650: BF8CC67F
	v_mfma_i32_16x16x32_i8 v[104:107], v[194:195], v[90:91], v[104:107]// 000000004654: D3D70068 05A2B5C2
	s_waitcnt lgkmcnt(5)                                       // 00000000465C: BF8CC57F
	v_mfma_i32_16x16x32_i8 v[104:107], v[196:197], v[92:93], v[104:107]// 000000004660: D3D70068 05A2B9C4
	s_waitcnt lgkmcnt(4)                                       // 000000004668: BF8CC47F
	v_mfma_i32_16x16x32_i8 v[104:107], v[198:199], v[94:95], v[104:107]// 00000000466C: D3D70068 05A2BDC6
	s_waitcnt lgkmcnt(3)                                       // 000000004674: BF8CC37F
	v_mfma_i32_16x16x32_i8 v[104:107], v[200:201], v[96:97], v[104:107]// 000000004678: D3D70068 05A2C1C8
	buffer_load_dwordx4 v[244:247], v35, s[20:23], 0 offen offset:1024// 000000004680: E05C1400 8005F423
	s_waitcnt lgkmcnt(2)                                       // 000000004688: BF8CC27F
	v_mfma_i32_16x16x32_i8 v[104:107], v[202:203], v[98:99], v[104:107]// 00000000468C: D3D70068 05A2C5CA
	s_waitcnt lgkmcnt(1)                                       // 000000004694: BF8CC17F
	v_mfma_i32_16x16x32_i8 v[104:107], v[204:205], v[100:101], v[104:107]// 000000004698: D3D70068 05A2C9CC
	s_waitcnt lgkmcnt(0)                                       // 0000000046A0: BF8CC07F
	v_mfma_i32_16x16x32_i8 v[104:107], v[206:207], v[102:103], v[104:107]// 0000000046A4: D3D70068 05A2CDCE
	v_mfma_i32_16x16x32_i8 v[108:111], v[208:209], v[88:89], 0 // 0000000046AC: D3D7006C 0202B1D0
	buffer_load_dwordx4 v[248:251], v36, s[20:23], 0 offen offset:1024// 0000000046B4: E05C1400 8005F824
	v_mfma_i32_16x16x32_i8 v[108:111], v[210:211], v[90:91], v[108:111]// 0000000046BC: D3D7006C 05B2B5D2
	v_mfma_i32_16x16x32_i8 v[108:111], v[212:213], v[92:93], v[108:111]// 0000000046C4: D3D7006C 05B2B9D4
	v_mfma_i32_16x16x32_i8 v[108:111], v[214:215], v[94:95], v[108:111]// 0000000046CC: D3D7006C 05B2BDD6
	v_mfma_i32_16x16x32_i8 v[108:111], v[216:217], v[96:97], v[108:111]// 0000000046D4: D3D7006C 05B2C1D8
	buffer_load_dwordx4 v[252:255], v37, s[20:23], 0 offen offset:1024// 0000000046DC: E05C1400 8005FC25
	v_mfma_i32_16x16x32_i8 v[108:111], v[218:219], v[98:99], v[108:111]// 0000000046E4: D3D7006C 05B2C5DA
	v_mfma_i32_16x16x32_i8 v[108:111], v[220:221], v[100:101], v[108:111]// 0000000046EC: D3D7006C 05B2C9DC
	s_lshr_b32 s57, s70, 4                                     // 0000000046F4: 8F398446
	s_add_u32 s57, 48, s57                                     // 0000000046F8: 803939B0
	v_mfma_i32_16x16x32_i8 v[108:111], v[222:223], v[102:103], v[108:111]// 0000000046FC: D3D7006C 05B2CDDE
	s_cmp_ge_u32 s57, s73                                      // 000000004704: BF094939
	s_cselect_b32 s56, 0, s56                                  // 000000004708: 85383880
	v_add_u32_e32 v1, s56, v1                                  // 00000000470C: 68020238
	s_addk_i32 s70, 0x100                                      // 000000004710: B7460100
	s_cmp_lt_i32 s70, s71                                      // 000000004714: BF044746
	s_cbranch_scc0 label_0708                                  // 000000004718: BF84FD81
	s_waitcnt vmcnt(8) lgkmcnt(0)                              // 00000000471C: BF8C0078
	v_mul_u32_u24_dpp v38, v16, v53 row_newbcast:0 row_mask:0xf bank_mask:0xf// 000000004720: 104C6AFA FF015010
	v_mul_u32_u24_dpp v39, v16, v53 row_newbcast:4 row_mask:0xf bank_mask:0xf// 000000004728: 104E6AFA FF015410
	v_mul_u32_u24_dpp v40, v16, v53 row_newbcast:8 row_mask:0xf bank_mask:0xf// 000000004730: 10506AFA FF015810
	v_mul_u32_u24_dpp v41, v16, v53 row_newbcast:12 row_mask:0xf bank_mask:0xf// 000000004738: 10526AFA FF015C10
	v_add_u32_e32 v22, v38, v6                                 // 000000004740: 682C0D26
	v_add_u32_e32 v23, v39, v6                                 // 000000004744: 682E0D27
	v_add_u32_e32 v24, v40, v6                                 // 000000004748: 68300D28
	v_add_u32_e32 v25, v41, v6                                 // 00000000474C: 68320D29
	v_mul_u32_u24_dpp v38, v16, v63 quad_perm:[0,0,0,0] row_mask:0xf bank_mask:0xf// 000000004750: 104C7EFA FF000010
	v_add_u32_e32 v2, v38, v59                                 // 000000004758: 68047726
	v_mul_u32_u24_dpp v38, v16, v63 quad_perm:[0,0,0,0] row_mask:0xf bank_mask:0xf// 00000000475C: 104C7EFA FF000010
	v_add_u32_e32 v55, v38, v60                                // 000000004764: 686E7926
	v_mfma_i32_16x16x32_i8 v[88:91], v[160:161], v[80:81], 0   // 000000004768: D3D70058 0202A1A0
	buffer_load_dwordx4 v[128:131], v22, s[16:19], 0 offen     // 000000004770: E05C1000 80048016
	v_mfma_i32_16x16x32_i8 v[88:91], v[162:163], v[82:83], v[88:91]// 000000004778: D3D70058 0562A5A2
	v_mfma_i32_16x16x32_i8 v[88:91], v[164:165], v[84:85], v[88:91]// 000000004780: D3D70058 0562A9A4
	buffer_load_dword v17, v1, s[24:27], 0 offen               // 000000004788: E0501000 80061101
	v_mfma_i32_16x16x32_i8 v[88:91], v[166:167], v[86:87], v[88:91]// 000000004790: D3D70058 0562ADA6
	v_mfma_i32_16x16x32_i8 v[92:95], v[168:169], v[80:81], 0   // 000000004798: D3D7005C 0202A1A8
	buffer_load_dwordx4 v[132:135], v22, s[16:19], 0 offen offset:1024// 0000000047A0: E05C1400 80048416
	v_mfma_i32_16x16x32_i8 v[92:95], v[170:171], v[82:83], v[92:95]// 0000000047A8: D3D7005C 0572A5AA
	v_mfma_i32_16x16x32_i8 v[92:95], v[172:173], v[84:85], v[92:95]// 0000000047B0: D3D7005C 0572A9AC
	v_mfma_i32_16x16x32_i8 v[92:95], v[174:175], v[86:87], v[92:95]// 0000000047B8: D3D7005C 0572ADAE
	v_mfma_i32_16x16x32_i8 v[96:99], v[176:177], v[80:81], 0   // 0000000047C0: D3D70060 0202A1B0
	buffer_load_dwordx4 v[136:139], v23, s[16:19], 0 offen     // 0000000047C8: E05C1000 80048817
	v_mfma_i32_16x16x32_i8 v[96:99], v[178:179], v[82:83], v[96:99]// 0000000047D0: D3D70060 0582A5B2
	v_mfma_i32_16x16x32_i8 v[96:99], v[180:181], v[84:85], v[96:99]// 0000000047D8: D3D70060 0582A9B4
	v_mfma_i32_16x16x32_i8 v[96:99], v[182:183], v[86:87], v[96:99]// 0000000047E0: D3D70060 0582ADB6
	v_mfma_i32_16x16x32_i8 v[100:103], v[184:185], v[80:81], 0 // 0000000047E8: D3D70064 0202A1B8
	buffer_load_dwordx4 v[140:143], v23, s[16:19], 0 offen offset:1024// 0000000047F0: E05C1400 80048C17
	v_mfma_i32_16x16x32_i8 v[100:103], v[186:187], v[82:83], v[100:103]// 0000000047F8: D3D70064 0592A5BA
	v_mfma_i32_16x16x32_i8 v[100:103], v[188:189], v[84:85], v[100:103]// 000000004800: D3D70064 0592A9BC
	v_mfma_i32_16x16x32_i8 v[100:103], v[190:191], v[86:87], v[100:103]// 000000004808: D3D70064 0592ADBE
	buffer_load_dword v46, v2, s[32:35], 0 offen               // 000000004810: E0501000 80082E02
	v_mov_b32_dpp v38, v47 row_shr:4 row_mask:0xf bank_mask:0xf// 000000004818: 7E4C02FA FF01142F
	v_mov_b32_dpp v39, v47 row_shl:4 row_mask:0xf bank_mask:0xf// 000000004820: 7E4E02FA FF01042F
	v_cndmask_b32_e64 v120, v47, v38, s[44:45]                 // 000000004828: D1000078 00B24D2F
	v_cndmask_b32_e64 v121, v39, v47, s[44:45]                 // 000000004830: D1000079 00B25F27
	v_mov_b32_dpp v38, v120 row_shr:8 row_mask:0xf bank_mask:0xf// 000000004838: 7E4C02FA FF011878
	v_mov_b32_dpp v39, v120 row_shl:8 row_mask:0xf bank_mask:0xf// 000000004840: 7E4E02FA FF010878
	v_mov_b32_dpp v40, v121 row_shr:8 row_mask:0xf bank_mask:0xf// 000000004848: 7E5002FA FF011879
	v_mov_b32_dpp v41, v121 row_shl:8 row_mask:0xf bank_mask:0xf// 000000004850: 7E5202FA FF010879
	v_mov_b32_e32 v42, v120                                    // 000000004858: 7E540378
	v_mov_b32_e32 v43, v121                                    // 00000000485C: 7E560379
	v_cndmask_b32_e64 v120, v42, v38, s[42:43]                 // 000000004860: D1000078 00AA4D2A
	v_cndmask_b32_e64 v122, v42, v39, s[78:79]                 // 000000004868: D100007A 013A4F2A
	v_cndmask_b32_e64 v121, v43, v40, s[42:43]                 // 000000004870: D1000079 00AA512B
	v_cndmask_b32_e64 v123, v43, v41, s[78:79]                 // 000000004878: D100007B 013A532B
	v_mov_b32_dpp v38, v58 row_shr:4 row_mask:0xf bank_mask:0xf// 000000004880: 7E4C02FA FF01143A
	v_mov_b32_dpp v39, v58 row_shl:4 row_mask:0xf bank_mask:0xf// 000000004888: 7E4E02FA FF01043A
	v_cndmask_b32_e64 v124, v58, v38, s[44:45]                 // 000000004890: D100007C 00B24D3A
	v_cndmask_b32_e64 v125, v39, v58, s[44:45]                 // 000000004898: D100007D 00B27527
	v_mov_b32_dpp v38, v124 row_shr:8 row_mask:0xf bank_mask:0xf// 0000000048A0: 7E4C02FA FF01187C
	v_mov_b32_dpp v39, v124 row_shl:8 row_mask:0xf bank_mask:0xf// 0000000048A8: 7E4E02FA FF01087C
	v_mov_b32_dpp v40, v125 row_shr:8 row_mask:0xf bank_mask:0xf// 0000000048B0: 7E5002FA FF01187D
	v_mov_b32_dpp v41, v125 row_shl:8 row_mask:0xf bank_mask:0xf// 0000000048B8: 7E5202FA FF01087D
	v_mov_b32_e32 v42, v124                                    // 0000000048C0: 7E54037C
	v_mov_b32_e32 v43, v125                                    // 0000000048C4: 7E56037D
	v_cndmask_b32_e64 v124, v42, v38, s[42:43]                 // 0000000048C8: D100007C 00AA4D2A
	v_cndmask_b32_e64 v126, v42, v39, s[78:79]                 // 0000000048D0: D100007E 013A4F2A
	v_cndmask_b32_e64 v125, v43, v40, s[42:43]                 // 0000000048D8: D100007D 00AA512B
	v_cndmask_b32_e64 v127, v43, v41, s[78:79]                 // 0000000048E0: D100007F 013A532B
	buffer_load_dword v57, v55, s[36:39], 0 offen              // 0000000048E8: E0501000 80093937
	v_cvt_f32_i32_e32 v88, v88                                 // 0000000048F0: 7EB00B58
	v_cvt_f32_i32_e32 v89, v89                                 // 0000000048F4: 7EB20B59
	v_cvt_f32_i32_e32 v90, v90                                 // 0000000048F8: 7EB40B5A
	v_cvt_f32_i32_e32 v91, v91                                 // 0000000048FC: 7EB60B5B
	v_cvt_f32_i32_e32 v92, v92                                 // 000000004900: 7EB80B5C
	v_cvt_f32_i32_e32 v93, v93                                 // 000000004904: 7EBA0B5D
	v_cvt_f32_i32_e32 v94, v94                                 // 000000004908: 7EBC0B5E
	v_cvt_f32_i32_e32 v95, v95                                 // 00000000490C: 7EBE0B5F
	v_cvt_f32_i32_e32 v96, v96                                 // 000000004910: 7EC00B60
	v_cvt_f32_i32_e32 v97, v97                                 // 000000004914: 7EC20B61
	v_cvt_f32_i32_e32 v98, v98                                 // 000000004918: 7EC40B62
	v_cvt_f32_i32_e32 v99, v99                                 // 00000000491C: 7EC60B63
	v_cvt_f32_i32_e32 v100, v100                               // 000000004920: 7EC80B64
	v_cvt_f32_i32_e32 v101, v101                               // 000000004924: 7ECA0B65
	v_cvt_f32_i32_e32 v102, v102                               // 000000004928: 7ECC0B66
	v_cvt_f32_i32_e32 v103, v103                               // 00000000492C: 7ECE0B67
	v_mul_f32_e32 v88, v48, v88                                // 000000004930: 0AB0B130
	v_mul_f32_e32 v89, v48, v89                                // 000000004934: 0AB2B330
	v_mul_f32_e32 v90, v48, v90                                // 000000004938: 0AB4B530
	v_mul_f32_e32 v91, v48, v91                                // 00000000493C: 0AB6B730
	v_mul_f32_e32 v92, v48, v92                                // 000000004940: 0AB8B930
	v_mul_f32_e32 v93, v48, v93                                // 000000004944: 0ABABB30
	v_mul_f32_e32 v94, v48, v94                                // 000000004948: 0ABCBD30
	v_mul_f32_e32 v95, v48, v95                                // 00000000494C: 0ABEBF30
	v_mul_f32_e32 v96, v48, v96                                // 000000004950: 0AC0C130
	v_mul_f32_e32 v97, v48, v97                                // 000000004954: 0AC2C330
	v_mul_f32_e32 v98, v48, v98                                // 000000004958: 0AC4C530
	v_mul_f32_e32 v99, v48, v99                                // 00000000495C: 0AC6C730
	v_mul_f32_e32 v100, v48, v100                              // 000000004960: 0AC8C930
	v_mul_f32_e32 v101, v48, v101                              // 000000004964: 0ACACB30
	v_mul_f32_e32 v102, v48, v102                              // 000000004968: 0ACCCD30
	v_mul_f32_e32 v103, v48, v103                              // 00000000496C: 0ACECF30
	buffer_load_dwordx4 v[144:147], v24, s[16:19], 0 offen     // 000000004970: E05C1000 80049018
	v_mul_f32_dpp v88, v120, v88 quad_perm:[0,0,0,0] row_mask:0xf bank_mask:0xf// 000000004978: 0AB0B0FA FF000078
	v_mul_f32_dpp v89, v120, v89 quad_perm:[1,1,1,1] row_mask:0xf bank_mask:0xf// 000000004980: 0AB2B2FA FF005578
	v_mul_f32_dpp v90, v120, v90 quad_perm:[2,2,2,2] row_mask:0xf bank_mask:0xf// 000000004988: 0AB4B4FA FF00AA78
	v_mul_f32_dpp v91, v120, v91 quad_perm:[3,3,3,3] row_mask:0xf bank_mask:0xf// 000000004990: 0AB6B6FA FF00FF78
	v_mul_f32_dpp v92, v121, v92 quad_perm:[0,0,0,0] row_mask:0xf bank_mask:0xf// 000000004998: 0AB8B8FA FF000079
	v_mul_f32_dpp v93, v121, v93 quad_perm:[1,1,1,1] row_mask:0xf bank_mask:0xf// 0000000049A0: 0ABABAFA FF005579
	v_mul_f32_dpp v94, v121, v94 quad_perm:[2,2,2,2] row_mask:0xf bank_mask:0xf// 0000000049A8: 0ABCBCFA FF00AA79
	v_mul_f32_dpp v95, v121, v95 quad_perm:[3,3,3,3] row_mask:0xf bank_mask:0xf// 0000000049B0: 0ABEBEFA FF00FF79
	v_mul_f32_dpp v96, v122, v96 quad_perm:[0,0,0,0] row_mask:0xf bank_mask:0xf// 0000000049B8: 0AC0C0FA FF00007A
	v_mul_f32_dpp v97, v122, v97 quad_perm:[1,1,1,1] row_mask:0xf bank_mask:0xf// 0000000049C0: 0AC2C2FA FF00557A
	v_mul_f32_dpp v98, v122, v98 quad_perm:[2,2,2,2] row_mask:0xf bank_mask:0xf// 0000000049C8: 0AC4C4FA FF00AA7A
	v_mul_f32_dpp v99, v122, v99 quad_perm:[3,3,3,3] row_mask:0xf bank_mask:0xf// 0000000049D0: 0AC6C6FA FF00FF7A
	v_mul_f32_dpp v100, v123, v100 quad_perm:[0,0,0,0] row_mask:0xf bank_mask:0xf// 0000000049D8: 0AC8C8FA FF00007B
	v_mul_f32_dpp v101, v123, v101 quad_perm:[1,1,1,1] row_mask:0xf bank_mask:0xf// 0000000049E0: 0ACACAFA FF00557B
	v_mul_f32_dpp v102, v123, v102 quad_perm:[2,2,2,2] row_mask:0xf bank_mask:0xf// 0000000049E8: 0ACCCCFA FF00AA7B
	v_mul_f32_dpp v103, v123, v103 quad_perm:[3,3,3,3] row_mask:0xf bank_mask:0xf// 0000000049F0: 0ACECEFA FF00FF7B
	buffer_load_dwordx4 v[148:151], v24, s[16:19], 0 offen offset:1024// 0000000049F8: E05C1400 80049418
	v_mov_b32_e32 v50, v88                                     // 000000004A00: 7E640358
	v_max3_f32 v50, v88, v89, v50                              // 000000004A04: D1D30032 04CAB358
	v_max3_f32 v50, v90, v91, v50                              // 000000004A0C: D1D30032 04CAB75A
	v_max3_f32 v50, v92, v93, v50                              // 000000004A14: D1D30032 04CABB5C
	v_max3_f32 v50, v94, v95, v50                              // 000000004A1C: D1D30032 04CABF5E
	v_max3_f32 v50, v96, v97, v50                              // 000000004A24: D1D30032 04CAC360
	v_max3_f32 v50, v98, v99, v50                              // 000000004A2C: D1D30032 04CAC762
	v_max3_f32 v50, v100, v101, v50                            // 000000004A34: D1D30032 04CACB64
	v_max3_f32 v50, v102, v103, v50                            // 000000004A3C: D1D30032 04CACF66
	ds_write_b32 v11, v50 offset:4224                          // 000000004A44: D81A1080 0000320B
	buffer_load_dwordx4 v[152:155], v25, s[16:19], 0 offen     // 000000004A4C: E05C1000 80049819
	v_mul_u32_u24_dpp v38, v16, v53 row_newbcast:1 row_mask:0xf bank_mask:0xf// 000000004A54: 104C6AFA FF015110
	v_mul_u32_u24_dpp v39, v16, v53 row_newbcast:5 row_mask:0xf bank_mask:0xf// 000000004A5C: 104E6AFA FF015510
	v_mul_u32_u24_dpp v40, v16, v53 row_newbcast:9 row_mask:0xf bank_mask:0xf// 000000004A64: 10506AFA FF015910
	v_mul_u32_u24_dpp v41, v16, v53 row_newbcast:13 row_mask:0xf bank_mask:0xf// 000000004A6C: 10526AFA FF015D10
	v_add_u32_e32 v30, v38, v7                                 // 000000004A74: 683C0F26
	v_add_u32_e32 v31, v39, v7                                 // 000000004A78: 683E0F27
	v_add_u32_e32 v32, v40, v7                                 // 000000004A7C: 68400F28
	v_add_u32_e32 v33, v41, v7                                 // 000000004A80: 68420F29
	s_waitcnt lgkmcnt(0)                                       // 000000004A84: BF8CC07F
	s_barrier                                                  // 000000004A88: BF8A0000
	ds_read_b32 v64, v10 offset:4224                           // 000000004A8C: D86C1080 4000000A
	ds_read_b32 v65, v10 offset:4288                           // 000000004A94: D86C10C0 4100000A
	ds_read_b32 v66, v10 offset:4352                           // 000000004A9C: D86C1100 4200000A
	ds_read_b32 v67, v10 offset:4416                           // 000000004AA4: D86C1140 4300000A
	ds_read_b32 v68, v10 offset:4480                           // 000000004AAC: D86C1180 4400000A
	ds_read_b32 v69, v10 offset:4544                           // 000000004AB4: D86C11C0 4500000A
	ds_read_b32 v70, v10 offset:4608                           // 000000004ABC: D86C1200 4600000A
	ds_read_b32 v71, v10 offset:4672                           // 000000004AC4: D86C1240 4700000A
	ds_read_b32 v72, v10 offset:4736                           // 000000004ACC: D86C1280 4800000A
	ds_read_b32 v73, v10 offset:4800                           // 000000004AD4: D86C12C0 4900000A
	ds_read_b32 v74, v10 offset:4864                           // 000000004ADC: D86C1300 4A00000A
	ds_read_b32 v75, v10 offset:4928                           // 000000004AE4: D86C1340 4B00000A
	ds_read_b32 v76, v10 offset:4992                           // 000000004AEC: D86C1380 4C00000A
	ds_read_b32 v77, v10 offset:5056                           // 000000004AF4: D86C13C0 4D00000A
	ds_read_b32 v78, v10 offset:5120                           // 000000004AFC: D86C1400 4E00000A
	ds_read_b32 v79, v10 offset:5184                           // 000000004B04: D86C1440 4F00000A
	buffer_load_dwordx4 v[156:159], v25, s[16:19], 0 offen offset:1024// 000000004B0C: E05C1400 80049C19
	v_mul_f32_e32 v112, v51, v112                              // 000000004B14: 0AE0E133
	v_mul_f32_e32 v113, v51, v113                              // 000000004B18: 0AE2E333
	v_mul_f32_e32 v114, v51, v114                              // 000000004B1C: 0AE4E533
	v_mul_f32_e32 v115, v51, v115                              // 000000004B20: 0AE6E733
	v_mul_f32_e32 v116, v51, v116                              // 000000004B24: 0AE8E933
	v_mul_f32_e32 v117, v51, v117                              // 000000004B28: 0AEAEB33
	v_mul_f32_e32 v118, v51, v118                              // 000000004B2C: 0AECED33
	v_mul_f32_e32 v119, v51, v119                              // 000000004B30: 0AEEEF33
	s_waitcnt lgkmcnt(0)                                       // 000000004B34: BF8CC07F
	v_max3_f32 v50, v64, v65, v50                              // 000000004B38: D1D30032 04CA8340
	v_max3_f32 v50, v66, v67, v50                              // 000000004B40: D1D30032 04CA8742
	v_max3_f32 v50, v68, v69, v50                              // 000000004B48: D1D30032 04CA8B44
	v_max3_f32 v50, v70, v71, v50                              // 000000004B50: D1D30032 04CA8F46
	v_max3_f32 v50, v72, v73, v50                              // 000000004B58: D1D30032 04CA9348
	v_max3_f32 v50, v74, v75, v50                              // 000000004B60: D1D30032 04CA974A
	v_max3_f32 v50, v76, v77, v50                              // 000000004B68: D1D30032 04CA9B4C
	v_max3_f32 v50, v78, v79, v50                              // 000000004B70: D1D30032 04CA9F4E
	buffer_load_dwordx4 v[192:195], v30, s[20:23], 0 offen     // 000000004B78: E05C1000 8005C01E
	v_cmp_eq_u32_e64 s[40:41], v54, v14                        // 000000004B80: D0CA0028 00021D36
	s_nop 1                                                    // 000000004B88: BF800001
	v_max_f32_e32 v15, v50, v14                                // 000000004B8C: 161E1D32
	v_mul_f32_e32 v52, s64, v15                                // 000000004B90: 0A681E40
	v_fma_f32 v88, v88, s64, -v52                              // 000000004B94: D1CB0058 84D08158
	v_fma_f32 v89, v89, s64, -v52                              // 000000004B9C: D1CB0059 84D08159
	v_fma_f32 v90, v90, s64, -v52                              // 000000004BA4: D1CB005A 84D0815A
	v_fma_f32 v91, v91, s64, -v52                              // 000000004BAC: D1CB005B 84D0815B
	v_fma_f32 v92, v92, s64, -v52                              // 000000004BB4: D1CB005C 84D0815C
	v_fma_f32 v93, v93, s64, -v52                              // 000000004BBC: D1CB005D 84D0815D
	v_fma_f32 v94, v94, s64, -v52                              // 000000004BC4: D1CB005E 84D0815E
	v_fma_f32 v95, v95, s64, -v52                              // 000000004BCC: D1CB005F 84D0815F
	v_fma_f32 v96, v96, s64, -v52                              // 000000004BD4: D1CB0060 84D08160
	v_fma_f32 v97, v97, s64, -v52                              // 000000004BDC: D1CB0061 84D08161
	v_fma_f32 v98, v98, s64, -v52                              // 000000004BE4: D1CB0062 84D08162
	v_fma_f32 v99, v99, s64, -v52                              // 000000004BEC: D1CB0063 84D08163
	v_fma_f32 v100, v100, s64, -v52                            // 000000004BF4: D1CB0064 84D08164
	v_fma_f32 v101, v101, s64, -v52                            // 000000004BFC: D1CB0065 84D08165
	v_fma_f32 v102, v102, s64, -v52                            // 000000004C04: D1CB0066 84D08166
	v_fma_f32 v103, v103, s64, -v52                            // 000000004C0C: D1CB0067 84D08167
	buffer_load_dwordx4 v[196:199], v31, s[20:23], 0 offen     // 000000004C14: E05C1000 8005C41F
	v_exp_f32_e32 v88, v88                                     // 000000004C1C: 7EB04158
	v_exp_f32_e32 v89, v89                                     // 000000004C20: 7EB24159
	v_exp_f32_e32 v90, v90                                     // 000000004C24: 7EB4415A
	v_exp_f32_e32 v91, v91                                     // 000000004C28: 7EB6415B
	v_exp_f32_e32 v92, v92                                     // 000000004C2C: 7EB8415C
	v_exp_f32_e32 v93, v93                                     // 000000004C30: 7EBA415D
	v_exp_f32_e32 v94, v94                                     // 000000004C34: 7EBC415E
	v_exp_f32_e32 v95, v95                                     // 000000004C38: 7EBE415F
	v_exp_f32_e32 v96, v96                                     // 000000004C3C: 7EC04160
	v_exp_f32_e32 v97, v97                                     // 000000004C40: 7EC24161
	v_exp_f32_e32 v98, v98                                     // 000000004C44: 7EC44162
	v_exp_f32_e32 v99, v99                                     // 000000004C48: 7EC64163
	v_exp_f32_e32 v100, v100                                   // 000000004C4C: 7EC84164
	v_exp_f32_e32 v101, v101                                   // 000000004C50: 7ECA4165
	v_exp_f32_e32 v102, v102                                   // 000000004C54: 7ECC4166
	v_exp_f32_e32 v103, v103                                   // 000000004C58: 7ECE4167
	buffer_load_dwordx4 v[200:203], v32, s[20:23], 0 offen     // 000000004C5C: E05C1000 8005C820
	v_mul_f32_dpp v160, v124, v88 quad_perm:[0,0,0,0] row_mask:0xf bank_mask:0xf// 000000004C64: 0B40B0FA FF00007C
	v_mul_f32_dpp v161, v124, v89 quad_perm:[1,1,1,1] row_mask:0xf bank_mask:0xf// 000000004C6C: 0B42B2FA FF00557C
	v_mul_f32_dpp v162, v124, v90 quad_perm:[2,2,2,2] row_mask:0xf bank_mask:0xf// 000000004C74: 0B44B4FA FF00AA7C
	v_mul_f32_dpp v163, v124, v91 quad_perm:[3,3,3,3] row_mask:0xf bank_mask:0xf// 000000004C7C: 0B46B6FA FF00FF7C
	v_mul_f32_dpp v164, v125, v92 quad_perm:[0,0,0,0] row_mask:0xf bank_mask:0xf// 000000004C84: 0B48B8FA FF00007D
	v_mul_f32_dpp v165, v125, v93 quad_perm:[1,1,1,1] row_mask:0xf bank_mask:0xf// 000000004C8C: 0B4ABAFA FF00557D
	v_mul_f32_dpp v166, v125, v94 quad_perm:[2,2,2,2] row_mask:0xf bank_mask:0xf// 000000004C94: 0B4CBCFA FF00AA7D
	v_mul_f32_dpp v167, v125, v95 quad_perm:[3,3,3,3] row_mask:0xf bank_mask:0xf// 000000004C9C: 0B4EBEFA FF00FF7D
	v_mul_f32_dpp v168, v126, v96 quad_perm:[0,0,0,0] row_mask:0xf bank_mask:0xf// 000000004CA4: 0B50C0FA FF00007E
	v_mul_f32_dpp v169, v126, v97 quad_perm:[1,1,1,1] row_mask:0xf bank_mask:0xf// 000000004CAC: 0B52C2FA FF00557E
	v_mul_f32_dpp v170, v126, v98 quad_perm:[2,2,2,2] row_mask:0xf bank_mask:0xf// 000000004CB4: 0B54C4FA FF00AA7E
	v_mul_f32_dpp v171, v126, v99 quad_perm:[3,3,3,3] row_mask:0xf bank_mask:0xf// 000000004CBC: 0B56C6FA FF00FF7E
	v_mul_f32_dpp v172, v127, v100 quad_perm:[0,0,0,0] row_mask:0xf bank_mask:0xf// 000000004CC4: 0B58C8FA FF00007F
	v_mul_f32_dpp v173, v127, v101 quad_perm:[1,1,1,1] row_mask:0xf bank_mask:0xf// 000000004CCC: 0B5ACAFA FF00557F
	v_mul_f32_dpp v174, v127, v102 quad_perm:[2,2,2,2] row_mask:0xf bank_mask:0xf// 000000004CD4: 0B5CCCFA FF00AA7F
	v_mul_f32_dpp v175, v127, v103 quad_perm:[3,3,3,3] row_mask:0xf bank_mask:0xf// 000000004CDC: 0B5ECEFA FF00FF7F
	v_mov_b32_e32 v50, 0x358637bd                              // 000000004CE4: 7E6402FF 358637BD
	v_max3_f32 v50, |v160|, |v161|, v50                        // 000000004CEC: D1D30332 04CB43A0
	v_max3_f32 v50, |v162|, |v163|, v50                        // 000000004CF4: D1D30332 04CB47A2
	v_max3_f32 v50, |v164|, |v165|, v50                        // 000000004CFC: D1D30332 04CB4BA4
	v_max3_f32 v50, |v166|, |v167|, v50                        // 000000004D04: D1D30332 04CB4FA6
	v_max3_f32 v50, |v168|, |v169|, v50                        // 000000004D0C: D1D30332 04CB53A8
	v_max3_f32 v50, |v170|, |v171|, v50                        // 000000004D14: D1D30332 04CB57AA
	v_max3_f32 v50, |v172|, |v173|, v50                        // 000000004D1C: D1D30332 04CB5BAC
	v_max3_f32 v50, |v174|, |v175|, v50                        // 000000004D24: D1D30332 04CB5FAE
	buffer_load_dwordx4 v[204:207], v33, s[20:23], 0 offen     // 000000004D2C: E05C1000 8005CC21
	ds_write_b32 v11, v50 offset:5248                          // 000000004D34: D81A1480 0000320B
	v_sub_f32_e32 v51, v14, v15                                // 000000004D3C: 04661F0E
	v_cndmask_b32_e64 v51, v51, 0, s[40:41]                    // 000000004D40: D1000033 00A10133
	v_mov_b32_e32 v14, v15                                     // 000000004D48: 7E1C030F
	v_mul_f32_e32 v51, s64, v51                                // 000000004D4C: 0A666640
	v_exp_f32_e32 v51, v51                                     // 000000004D50: 7E664133
	s_waitcnt lgkmcnt(0)                                       // 000000004D54: BF8CC07F
	s_barrier                                                  // 000000004D58: BF8A0000
	ds_read_b32 v64, v10 offset:5248                           // 000000004D5C: D86C1480 4000000A
	ds_read_b32 v65, v10 offset:5312                           // 000000004D64: D86C14C0 4100000A
	ds_read_b32 v66, v10 offset:5376                           // 000000004D6C: D86C1500 4200000A
	ds_read_b32 v67, v10 offset:5440                           // 000000004D74: D86C1540 4300000A
	ds_read_b32 v68, v10 offset:5504                           // 000000004D7C: D86C1580 4400000A
	ds_read_b32 v69, v10 offset:5568                           // 000000004D84: D86C15C0 4500000A
	ds_read_b32 v70, v10 offset:5632                           // 000000004D8C: D86C1600 4600000A
	ds_read_b32 v71, v10 offset:5696                           // 000000004D94: D86C1640 4700000A
	ds_read_b32 v72, v10 offset:5760                           // 000000004D9C: D86C1680 4800000A
	ds_read_b32 v73, v10 offset:5824                           // 000000004DA4: D86C16C0 4900000A
	ds_read_b32 v74, v10 offset:5888                           // 000000004DAC: D86C1700 4A00000A
	ds_read_b32 v75, v10 offset:5952                           // 000000004DB4: D86C1740 4B00000A
	ds_read_b32 v76, v10 offset:6016                           // 000000004DBC: D86C1780 4C00000A
	ds_read_b32 v77, v10 offset:6080                           // 000000004DC4: D86C17C0 4D00000A
	ds_read_b32 v78, v10 offset:6144                           // 000000004DCC: D86C1800 4E00000A
	ds_read_b32 v79, v10 offset:6208                           // 000000004DD4: D86C1840 4F00000A
	v_mul_f32_e32 v44, v51, v44                                // 000000004DDC: 0A585933
	v_mov_b32_e32 v45, v88                                     // 000000004DE0: 7E5A0358
	v_add_f32_e32 v45, v89, v45                                // 000000004DE4: 025A5B59
	v_add_f32_e32 v45, v90, v45                                // 000000004DE8: 025A5B5A
	v_add_f32_e32 v45, v91, v45                                // 000000004DEC: 025A5B5B
	v_add_f32_e32 v45, v92, v45                                // 000000004DF0: 025A5B5C
	v_add_f32_e32 v45, v93, v45                                // 000000004DF4: 025A5B5D
	v_add_f32_e32 v45, v94, v45                                // 000000004DF8: 025A5B5E
	v_add_f32_e32 v45, v95, v45                                // 000000004DFC: 025A5B5F
	v_add_f32_e32 v45, v96, v45                                // 000000004E00: 025A5B60
	v_add_f32_e32 v45, v97, v45                                // 000000004E04: 025A5B61
	v_add_f32_e32 v45, v98, v45                                // 000000004E08: 025A5B62
	v_add_f32_e32 v45, v99, v45                                // 000000004E0C: 025A5B63
	v_add_f32_e32 v45, v100, v45                               // 000000004E10: 025A5B64
	v_add_f32_e32 v45, v101, v45                               // 000000004E14: 025A5B65
	v_add_f32_e32 v45, v102, v45                               // 000000004E18: 025A5B66
	v_add_f32_e32 v45, v103, v45                               // 000000004E1C: 025A5B67
	v_add_f32_e32 v44, v45, v44                                // 000000004E20: 0258592D
	s_waitcnt lgkmcnt(0)                                       // 000000004E24: BF8CC07F
	v_max3_f32 v50, |v64|, |v65|, v50                          // 000000004E28: D1D30332 04CA8340
	v_max3_f32 v50, |v66|, |v67|, v50                          // 000000004E30: D1D30332 04CA8742
	v_max3_f32 v50, |v68|, |v69|, v50                          // 000000004E38: D1D30332 04CA8B44
	v_max3_f32 v50, |v70|, |v71|, v50                          // 000000004E40: D1D30332 04CA8F46
	v_max3_f32 v50, |v72|, |v73|, v50                          // 000000004E48: D1D30332 04CA9348
	v_max3_f32 v50, |v74|, |v75|, v50                          // 000000004E50: D1D30332 04CA974A
	v_max3_f32 v50, |v76|, |v77|, v50                          // 000000004E58: D1D30332 04CA9B4C
	v_max3_f32 v50, |v78|, |v79|, v50                          // 000000004E60: D1D30332 04CA9F4E
	s_nop 2                                                    // 000000004E68: BF800002
	v_rcp_f32_e32 v50, v50                                     // 000000004E6C: 7E644532
	s_nop 1                                                    // 000000004E70: BF800001
	v_mul_f32_e32 v50, 0x42fe0000, v50                         // 000000004E74: 0A6464FF 42FE0000
	v_mul_f32_e32 v88, v50, v160                               // 000000004E7C: 0AB14132
	v_mul_f32_e32 v89, v50, v161                               // 000000004E80: 0AB34332
	v_mul_f32_e32 v90, v50, v162                               // 000000004E84: 0AB54532
	v_mul_f32_e32 v91, v50, v163                               // 000000004E88: 0AB74732
	v_mul_f32_e32 v92, v50, v164                               // 000000004E8C: 0AB94932
	v_mul_f32_e32 v93, v50, v165                               // 000000004E90: 0ABB4B32
	v_mul_f32_e32 v94, v50, v166                               // 000000004E94: 0ABD4D32
	v_mul_f32_e32 v95, v50, v167                               // 000000004E98: 0ABF4F32
	v_mul_f32_e32 v96, v50, v168                               // 000000004E9C: 0AC15132
	v_mul_f32_e32 v97, v50, v169                               // 000000004EA0: 0AC35332
	v_mul_f32_e32 v98, v50, v170                               // 000000004EA4: 0AC55532
	v_mul_f32_e32 v99, v50, v171                               // 000000004EA8: 0AC75732
	v_mul_f32_e32 v100, v50, v172                              // 000000004EAC: 0AC95932
	v_mul_f32_e32 v101, v50, v173                              // 000000004EB0: 0ACB5B32
	v_mul_f32_e32 v102, v50, v174                              // 000000004EB4: 0ACD5D32
	v_mul_f32_e32 v103, v50, v175                              // 000000004EB8: 0ACF5F32
	v_cvt_i32_f32_e32 v88, v88                                 // 000000004EBC: 7EB01158
	v_cvt_i32_f32_e32 v89, v89                                 // 000000004EC0: 7EB21159
	v_cvt_i32_f32_e32 v90, v90                                 // 000000004EC4: 7EB4115A
	v_cvt_i32_f32_e32 v91, v91                                 // 000000004EC8: 7EB6115B
	v_cvt_i32_f32_e32 v92, v92                                 // 000000004ECC: 7EB8115C
	v_cvt_i32_f32_e32 v93, v93                                 // 000000004ED0: 7EBA115D
	v_cvt_i32_f32_e32 v94, v94                                 // 000000004ED4: 7EBC115E
	v_cvt_i32_f32_e32 v95, v95                                 // 000000004ED8: 7EBE115F
	v_cvt_i32_f32_e32 v96, v96                                 // 000000004EDC: 7EC01160
	v_cvt_i32_f32_e32 v97, v97                                 // 000000004EE0: 7EC21161
	v_cvt_i32_f32_e32 v98, v98                                 // 000000004EE4: 7EC41162
	v_cvt_i32_f32_e32 v99, v99                                 // 000000004EE8: 7EC61163
	v_cvt_i32_f32_e32 v100, v100                               // 000000004EEC: 7EC81164
	v_cvt_i32_f32_e32 v101, v101                               // 000000004EF0: 7ECA1165
	v_cvt_i32_f32_e32 v102, v102                               // 000000004EF4: 7ECC1166
	v_cvt_i32_f32_e32 v103, v103                               // 000000004EF8: 7ECE1167
	v_perm_b32 v88, v89, v88, s53                              // 000000004EFC: D1ED0058 00D6B159
	v_perm_b32 v88, v90, v88, s54                              // 000000004F04: D1ED0058 00DAB15A
	v_perm_b32 v88, v91, v88, s55                              // 000000004F0C: D1ED0058 00DEB15B
	v_perm_b32 v89, v93, v92, s53                              // 000000004F14: D1ED0059 00D6B95D
	v_perm_b32 v89, v94, v89, s54                              // 000000004F1C: D1ED0059 00DAB35E
	v_perm_b32 v89, v95, v89, s55                              // 000000004F24: D1ED0059 00DEB35F
	v_perm_b32 v90, v97, v96, s53                              // 000000004F2C: D1ED005A 00D6C161
	v_perm_b32 v90, v98, v90, s54                              // 000000004F34: D1ED005A 00DAB562
	v_perm_b32 v90, v99, v90, s55                              // 000000004F3C: D1ED005A 00DEB563
	v_perm_b32 v91, v101, v100, s53                            // 000000004F44: D1ED005B 00D6C965
	v_perm_b32 v91, v102, v91, s54                             // 000000004F4C: D1ED005B 00DAB766
	v_perm_b32 v91, v103, v91, s55                             // 000000004F54: D1ED005B 00DEB767
	ds_write_b32 v13, v88 offset:6272                          // 000000004F5C: D81A1880 0000580D
	ds_write_b32 v13, v89 offset:7296                          // 000000004F64: D81A1C80 0000590D
	ds_write_b32 v13, v90 offset:8320                          // 000000004F6C: D81A2080 00005A0D
	ds_write_b32 v13, v91 offset:9344                          // 000000004F74: D81A2480 00005B0D
	v_cvt_f32_i32_e32 v104, v104                               // 000000004F7C: 7ED00B68
	v_cvt_f32_i32_e32 v105, v105                               // 000000004F80: 7ED20B69
	v_cvt_f32_i32_e32 v106, v106                               // 000000004F84: 7ED40B6A
	v_cvt_f32_i32_e32 v107, v107                               // 000000004F88: 7ED60B6B
	v_cvt_f32_i32_e32 v108, v108                               // 000000004F8C: 7ED80B6C
	v_cvt_f32_i32_e32 v109, v109                               // 000000004F90: 7EDA0B6D
	v_cvt_f32_i32_e32 v110, v110                               // 000000004F94: 7EDC0B6E
	v_cvt_f32_i32_e32 v111, v111                               // 000000004F98: 7EDE0B6F
	v_mul_f32_e32 v104, v49, v104                              // 000000004F9C: 0AD0D131
	v_mul_f32_e32 v105, v49, v105                              // 000000004FA0: 0AD2D331
	v_mul_f32_e32 v106, v49, v106                              // 000000004FA4: 0AD4D531
	v_mul_f32_e32 v107, v49, v107                              // 000000004FA8: 0AD6D731
	v_mul_f32_e32 v108, v49, v108                              // 000000004FAC: 0AD8D931
	v_mul_f32_e32 v109, v49, v109                              // 000000004FB0: 0ADADB31
	v_mul_f32_e32 v110, v49, v110                              // 000000004FB4: 0ADCDD31
	v_mul_f32_e32 v111, v49, v111                              // 000000004FB8: 0ADEDF31
	v_rcp_f32_e32 v49, v50                                     // 000000004FBC: 7E624532
	s_waitcnt lgkmcnt(0)                                       // 000000004FC0: BF8CC07F
	s_barrier                                                  // 000000004FC4: BF8A0000
	ds_read_b64 v[88:89], v12 offset:6272                      // 000000004FC8: D8EC1880 5800000C
	ds_read_b64 v[90:91], v12 offset:6400                      // 000000004FD0: D8EC1900 5A00000C
	ds_read_b64 v[92:93], v12 offset:7296                      // 000000004FD8: D8EC1C80 5C00000C
	ds_read_b64 v[94:95], v12 offset:7424                      // 000000004FE0: D8EC1D00 5E00000C
	ds_read_b64 v[96:97], v12 offset:8320                      // 000000004FE8: D8EC2080 6000000C
	ds_read_b64 v[98:99], v12 offset:8448                      // 000000004FF0: D8EC2100 6200000C
	ds_read_b64 v[100:101], v12 offset:9344                    // 000000004FF8: D8EC2480 6400000C
	ds_read_b64 v[102:103], v12 offset:9472                    // 000000005000: D8EC2500 6600000C
	v_add_f32_e32 v112, v112, v104                             // 000000005008: 02E0D170
	v_add_f32_e32 v113, v113, v105                             // 00000000500C: 02E2D371
	v_add_f32_e32 v114, v114, v106                             // 000000005010: 02E4D572
	v_add_f32_e32 v115, v115, v107                             // 000000005014: 02E6D773
	v_add_f32_e32 v116, v116, v108                             // 000000005018: 02E8D974
	v_add_f32_e32 v117, v117, v109                             // 00000000501C: 02EADB75
	v_add_f32_e32 v118, v118, v110                             // 000000005020: 02ECDD76
	v_add_f32_e32 v119, v119, v111                             // 000000005024: 02EEDF77
	s_waitcnt vmcnt(15)                                        // 000000005028: BF8C0F7F
	s_waitcnt lgkmcnt(7)                                       // 00000000502C: BF8CC77F
	v_mfma_i32_16x16x32_i8 v[104:107], v[224:225], v[88:89], 0 // 000000005030: D3D70068 0202B1E0
	buffer_load_dwordx4 v[208:211], v30, s[20:23], 0 offen offset:1024// 000000005038: E05C1400 8005D01E
	s_waitcnt lgkmcnt(6)                                       // 000000005040: BF8CC67F
	v_mfma_i32_16x16x32_i8 v[104:107], v[226:227], v[90:91], v[104:107]// 000000005044: D3D70068 05A2B5E2
	s_waitcnt lgkmcnt(5)                                       // 00000000504C: BF8CC57F
	v_mfma_i32_16x16x32_i8 v[104:107], v[228:229], v[92:93], v[104:107]// 000000005050: D3D70068 05A2B9E4
	s_waitcnt lgkmcnt(4)                                       // 000000005058: BF8CC47F
	v_mfma_i32_16x16x32_i8 v[104:107], v[230:231], v[94:95], v[104:107]// 00000000505C: D3D70068 05A2BDE6
	s_waitcnt lgkmcnt(3)                                       // 000000005064: BF8CC37F
	v_mfma_i32_16x16x32_i8 v[104:107], v[232:233], v[96:97], v[104:107]// 000000005068: D3D70068 05A2C1E8
	buffer_load_dwordx4 v[212:215], v31, s[20:23], 0 offen offset:1024// 000000005070: E05C1400 8005D41F
	s_waitcnt lgkmcnt(2)                                       // 000000005078: BF8CC27F
	v_mfma_i32_16x16x32_i8 v[104:107], v[234:235], v[98:99], v[104:107]// 00000000507C: D3D70068 05A2C5EA
	s_waitcnt lgkmcnt(1)                                       // 000000005084: BF8CC17F
	v_mfma_i32_16x16x32_i8 v[104:107], v[236:237], v[100:101], v[104:107]// 000000005088: D3D70068 05A2C9EC
	s_waitcnt lgkmcnt(0)                                       // 000000005090: BF8CC07F
	v_mfma_i32_16x16x32_i8 v[104:107], v[238:239], v[102:103], v[104:107]// 000000005094: D3D70068 05A2CDEE
	v_mfma_i32_16x16x32_i8 v[108:111], v[240:241], v[88:89], 0 // 00000000509C: D3D7006C 0202B1F0
	buffer_load_dwordx4 v[216:219], v32, s[20:23], 0 offen offset:1024// 0000000050A4: E05C1400 8005D820
	v_mfma_i32_16x16x32_i8 v[108:111], v[242:243], v[90:91], v[108:111]// 0000000050AC: D3D7006C 05B2B5F2
	v_mfma_i32_16x16x32_i8 v[108:111], v[244:245], v[92:93], v[108:111]// 0000000050B4: D3D7006C 05B2B9F4
	v_mfma_i32_16x16x32_i8 v[108:111], v[246:247], v[94:95], v[108:111]// 0000000050BC: D3D7006C 05B2BDF6
	v_mfma_i32_16x16x32_i8 v[108:111], v[248:249], v[96:97], v[108:111]// 0000000050C4: D3D7006C 05B2C1F8
	buffer_load_dwordx4 v[220:223], v33, s[20:23], 0 offen offset:1024// 0000000050CC: E05C1400 8005DC21
	v_mfma_i32_16x16x32_i8 v[108:111], v[250:251], v[98:99], v[108:111]// 0000000050D4: D3D7006C 05B2C5FA
	v_mfma_i32_16x16x32_i8 v[108:111], v[252:253], v[100:101], v[108:111]// 0000000050DC: D3D7006C 05B2C9FC
	s_lshr_b32 s57, s70, 4                                     // 0000000050E4: 8F398446
	s_add_u32 s57, 48, s57                                     // 0000000050E8: 803939B0
	v_mfma_i32_16x16x32_i8 v[108:111], v[254:255], v[102:103], v[108:111]// 0000000050EC: D3D7006C 05B2CDFE
	s_cmp_ge_u32 s57, s73                                      // 0000000050F4: BF094939
	s_cselect_b32 s56, 0, s56                                  // 0000000050F8: 85383880
	v_add_u32_e32 v1, s56, v1                                  // 0000000050FC: 68020238
	s_addk_i32 s70, 0x100                                      // 000000005100: B7460100
	s_cmp_lt_i32 s70, s71                                      // 000000005104: BF044746
	s_cbranch_scc0 label_0708                                  // 000000005108: BF84FB05
	s_branch label_070B                                        // 00000000510C: BF82FB07

0000000000005110 <label_0C04>:
	s_lshr_b32 s60, s71, 4                                     // 000000005110: 8F3C8447
	s_cmp_eq_i32 s60, s73                                      // 000000005114: BF00493C
	s_cbranch_scc1 label_114F                                  // 000000005118: BF850548
	s_lshr_b32 s60, s71, 8                                     // 00000000511C: 8F3C8847
	s_and_b32 s60, s60, 1                                      // 000000005120: 863C813C
	s_cmp_eq_i32 s60, 1                                        // 000000005124: BF00813C
	s_cbranch_scc1 label_0EAD                                  // 000000005128: BF8502A2
	s_waitcnt vmcnt(8) lgkmcnt(0)                              // 00000000512C: BF8C0078
	s_barrier                                                  // 000000005130: BF8A0000
	v_mfma_i32_16x16x32_i8 v[88:91], v[128:129], v[80:81], 0   // 000000005134: D3D70058 0202A180
	v_mfma_i32_16x16x32_i8 v[88:91], v[130:131], v[82:83], v[88:91]// 00000000513C: D3D70058 0562A582
	v_mfma_i32_16x16x32_i8 v[88:91], v[132:133], v[84:85], v[88:91]// 000000005144: D3D70058 0562A984
	v_mfma_i32_16x16x32_i8 v[88:91], v[134:135], v[86:87], v[88:91]// 00000000514C: D3D70058 0562AD86
	v_mfma_i32_16x16x32_i8 v[92:95], v[136:137], v[80:81], 0   // 000000005154: D3D7005C 0202A188
	v_mfma_i32_16x16x32_i8 v[92:95], v[138:139], v[82:83], v[92:95]// 00000000515C: D3D7005C 0572A58A
	v_mfma_i32_16x16x32_i8 v[92:95], v[140:141], v[84:85], v[92:95]// 000000005164: D3D7005C 0572A98C
	v_mfma_i32_16x16x32_i8 v[92:95], v[142:143], v[86:87], v[92:95]// 00000000516C: D3D7005C 0572AD8E
	v_mfma_i32_16x16x32_i8 v[96:99], v[144:145], v[80:81], 0   // 000000005174: D3D70060 0202A190
	v_mfma_i32_16x16x32_i8 v[96:99], v[146:147], v[82:83], v[96:99]// 00000000517C: D3D70060 0582A592
	v_mfma_i32_16x16x32_i8 v[96:99], v[148:149], v[84:85], v[96:99]// 000000005184: D3D70060 0582A994
	v_mfma_i32_16x16x32_i8 v[96:99], v[150:151], v[86:87], v[96:99]// 00000000518C: D3D70060 0582AD96
	v_mfma_i32_16x16x32_i8 v[100:103], v[152:153], v[80:81], 0 // 000000005194: D3D70064 0202A198
	v_mfma_i32_16x16x32_i8 v[100:103], v[154:155], v[82:83], v[100:103]// 00000000519C: D3D70064 0592A59A
	v_mfma_i32_16x16x32_i8 v[100:103], v[156:157], v[84:85], v[100:103]// 0000000051A4: D3D70064 0592A99C
	v_mfma_i32_16x16x32_i8 v[100:103], v[158:159], v[86:87], v[100:103]// 0000000051AC: D3D70064 0592AD9E
	v_mov_b32_dpp v38, v46 row_shr:4 row_mask:0xf bank_mask:0xf// 0000000051B4: 7E4C02FA FF01142E
	v_mov_b32_dpp v39, v46 row_shl:4 row_mask:0xf bank_mask:0xf// 0000000051BC: 7E4E02FA FF01042E
	v_cndmask_b32_e64 v120, v46, v38, s[44:45]                 // 0000000051C4: D1000078 00B24D2E
	v_cndmask_b32_e64 v121, v39, v46, s[44:45]                 // 0000000051CC: D1000079 00B25D27
	v_mov_b32_dpp v38, v120 row_shr:8 row_mask:0xf bank_mask:0xf// 0000000051D4: 7E4C02FA FF011878
	v_mov_b32_dpp v39, v120 row_shl:8 row_mask:0xf bank_mask:0xf// 0000000051DC: 7E4E02FA FF010878
	v_mov_b32_dpp v40, v121 row_shr:8 row_mask:0xf bank_mask:0xf// 0000000051E4: 7E5002FA FF011879
	v_mov_b32_dpp v41, v121 row_shl:8 row_mask:0xf bank_mask:0xf// 0000000051EC: 7E5202FA FF010879
	v_mov_b32_e32 v42, v120                                    // 0000000051F4: 7E540378
	v_mov_b32_e32 v43, v121                                    // 0000000051F8: 7E560379
	v_cndmask_b32_e64 v120, v42, v38, s[42:43]                 // 0000000051FC: D1000078 00AA4D2A
	v_cndmask_b32_e64 v122, v42, v39, s[78:79]                 // 000000005204: D100007A 013A4F2A
	v_cndmask_b32_e64 v121, v43, v40, s[42:43]                 // 00000000520C: D1000079 00AA512B
	v_cndmask_b32_e64 v123, v43, v41, s[78:79]                 // 000000005214: D100007B 013A532B
	v_mov_b32_dpp v38, v57 row_shr:4 row_mask:0xf bank_mask:0xf// 00000000521C: 7E4C02FA FF011439
	v_mov_b32_dpp v39, v57 row_shl:4 row_mask:0xf bank_mask:0xf// 000000005224: 7E4E02FA FF010439
	v_cndmask_b32_e64 v124, v57, v38, s[44:45]                 // 00000000522C: D100007C 00B24D39
	v_cndmask_b32_e64 v125, v39, v57, s[44:45]                 // 000000005234: D100007D 00B27327
	v_mov_b32_dpp v38, v124 row_shr:8 row_mask:0xf bank_mask:0xf// 00000000523C: 7E4C02FA FF01187C
	v_mov_b32_dpp v39, v124 row_shl:8 row_mask:0xf bank_mask:0xf// 000000005244: 7E4E02FA FF01087C
	v_mov_b32_dpp v40, v125 row_shr:8 row_mask:0xf bank_mask:0xf// 00000000524C: 7E5002FA FF01187D
	v_mov_b32_dpp v41, v125 row_shl:8 row_mask:0xf bank_mask:0xf// 000000005254: 7E5202FA FF01087D
	v_mov_b32_e32 v42, v124                                    // 00000000525C: 7E54037C
	v_mov_b32_e32 v43, v125                                    // 000000005260: 7E56037D
	v_cndmask_b32_e64 v124, v42, v38, s[42:43]                 // 000000005264: D100007C 00AA4D2A
	v_cndmask_b32_e64 v126, v42, v39, s[78:79]                 // 00000000526C: D100007E 013A4F2A
	v_cndmask_b32_e64 v125, v43, v40, s[42:43]                 // 000000005274: D100007D 00AA512B
	v_cndmask_b32_e64 v127, v43, v41, s[78:79]                 // 00000000527C: D100007F 013A532B
	v_cvt_f32_i32_e32 v88, v88                                 // 000000005284: 7EB00B58
	v_cvt_f32_i32_e32 v89, v89                                 // 000000005288: 7EB20B59
	v_cvt_f32_i32_e32 v90, v90                                 // 00000000528C: 7EB40B5A
	v_cvt_f32_i32_e32 v91, v91                                 // 000000005290: 7EB60B5B
	v_cvt_f32_i32_e32 v92, v92                                 // 000000005294: 7EB80B5C
	v_cvt_f32_i32_e32 v93, v93                                 // 000000005298: 7EBA0B5D
	v_cvt_f32_i32_e32 v94, v94                                 // 00000000529C: 7EBC0B5E
	v_cvt_f32_i32_e32 v95, v95                                 // 0000000052A0: 7EBE0B5F
	v_cvt_f32_i32_e32 v96, v96                                 // 0000000052A4: 7EC00B60
	v_cvt_f32_i32_e32 v97, v97                                 // 0000000052A8: 7EC20B61
	v_cvt_f32_i32_e32 v98, v98                                 // 0000000052AC: 7EC40B62
	v_cvt_f32_i32_e32 v99, v99                                 // 0000000052B0: 7EC60B63
	v_cvt_f32_i32_e32 v100, v100                               // 0000000052B4: 7EC80B64
	v_cvt_f32_i32_e32 v101, v101                               // 0000000052B8: 7ECA0B65
	v_cvt_f32_i32_e32 v102, v102                               // 0000000052BC: 7ECC0B66
	v_cvt_f32_i32_e32 v103, v103                               // 0000000052C0: 7ECE0B67
	v_mul_f32_e32 v88, v48, v88                                // 0000000052C4: 0AB0B130
	v_mul_f32_e32 v89, v48, v89                                // 0000000052C8: 0AB2B330
	v_mul_f32_e32 v90, v48, v90                                // 0000000052CC: 0AB4B530
	v_mul_f32_e32 v91, v48, v91                                // 0000000052D0: 0AB6B730
	v_mul_f32_e32 v92, v48, v92                                // 0000000052D4: 0AB8B930
	v_mul_f32_e32 v93, v48, v93                                // 0000000052D8: 0ABABB30
	v_mul_f32_e32 v94, v48, v94                                // 0000000052DC: 0ABCBD30
	v_mul_f32_e32 v95, v48, v95                                // 0000000052E0: 0ABEBF30
	v_mul_f32_e32 v96, v48, v96                                // 0000000052E4: 0AC0C130
	v_mul_f32_e32 v97, v48, v97                                // 0000000052E8: 0AC2C330
	v_mul_f32_e32 v98, v48, v98                                // 0000000052EC: 0AC4C530
	v_mul_f32_e32 v99, v48, v99                                // 0000000052F0: 0AC6C730
	v_mul_f32_e32 v100, v48, v100                              // 0000000052F4: 0AC8C930
	v_mul_f32_e32 v101, v48, v101                              // 0000000052F8: 0ACACB30
	v_mul_f32_e32 v102, v48, v102                              // 0000000052FC: 0ACCCD30
	v_mul_f32_e32 v103, v48, v103                              // 000000005300: 0ACECF30
	v_mul_f32_dpp v88, v120, v88 quad_perm:[0,0,0,0] row_mask:0xf bank_mask:0xf// 000000005304: 0AB0B0FA FF000078
	v_mul_f32_dpp v89, v120, v89 quad_perm:[1,1,1,1] row_mask:0xf bank_mask:0xf// 00000000530C: 0AB2B2FA FF005578
	v_mul_f32_dpp v90, v120, v90 quad_perm:[2,2,2,2] row_mask:0xf bank_mask:0xf// 000000005314: 0AB4B4FA FF00AA78
	v_mul_f32_dpp v91, v120, v91 quad_perm:[3,3,3,3] row_mask:0xf bank_mask:0xf// 00000000531C: 0AB6B6FA FF00FF78
	v_mul_f32_dpp v92, v121, v92 quad_perm:[0,0,0,0] row_mask:0xf bank_mask:0xf// 000000005324: 0AB8B8FA FF000079
	v_mul_f32_dpp v93, v121, v93 quad_perm:[1,1,1,1] row_mask:0xf bank_mask:0xf// 00000000532C: 0ABABAFA FF005579
	v_mul_f32_dpp v94, v121, v94 quad_perm:[2,2,2,2] row_mask:0xf bank_mask:0xf// 000000005334: 0ABCBCFA FF00AA79
	v_mul_f32_dpp v95, v121, v95 quad_perm:[3,3,3,3] row_mask:0xf bank_mask:0xf// 00000000533C: 0ABEBEFA FF00FF79
	v_mul_f32_dpp v96, v122, v96 quad_perm:[0,0,0,0] row_mask:0xf bank_mask:0xf// 000000005344: 0AC0C0FA FF00007A
	v_mul_f32_dpp v97, v122, v97 quad_perm:[1,1,1,1] row_mask:0xf bank_mask:0xf// 00000000534C: 0AC2C2FA FF00557A
	v_mul_f32_dpp v98, v122, v98 quad_perm:[2,2,2,2] row_mask:0xf bank_mask:0xf// 000000005354: 0AC4C4FA FF00AA7A
	v_mul_f32_dpp v99, v122, v99 quad_perm:[3,3,3,3] row_mask:0xf bank_mask:0xf// 00000000535C: 0AC6C6FA FF00FF7A
	v_mul_f32_dpp v100, v123, v100 quad_perm:[0,0,0,0] row_mask:0xf bank_mask:0xf// 000000005364: 0AC8C8FA FF00007B
	v_mul_f32_dpp v101, v123, v101 quad_perm:[1,1,1,1] row_mask:0xf bank_mask:0xf// 00000000536C: 0ACACAFA FF00557B
	v_mul_f32_dpp v102, v123, v102 quad_perm:[2,2,2,2] row_mask:0xf bank_mask:0xf// 000000005374: 0ACCCCFA FF00AA7B
	v_mul_f32_dpp v103, v123, v103 quad_perm:[3,3,3,3] row_mask:0xf bank_mask:0xf// 00000000537C: 0ACECEFA FF00FF7B
	s_and_b32 s60, s72, 0xff                                   // 000000005384: 863CFF48 000000FF
	v_mov_b32_e32 v64, s60                                     // 00000000538C: 7E80023C
	v_lshrrev_b32_e32 v80, 4, v0                               // 000000005390: 20A00084
	v_mul_i32_i24_e32 v80, 4, v80                              // 000000005394: 0CA0A084
	s_mul_i32 s60, s7, 16                                      // 000000005398: 923C9007
	v_add_u32_e32 v80, s60, v80                                // 00000000539C: 68A0A03C
	v_add_u32_e32 v81, 1, v80                                  // 0000000053A0: 68A2A081
	v_add_u32_e32 v82, 2, v80                                  // 0000000053A4: 68A4A082
	v_add_u32_e32 v83, 3, v80                                  // 0000000053A8: 68A6A083
	v_cmp_lt_u32_e64 s[40:41], v80, v64                        // 0000000053AC: D0C90028 00028150
	v_add_u32_e32 v80, 64, v80                                 // 0000000053B4: 68A0A0C0
	s_nop 0                                                    // 0000000053B8: BF800000
	v_cndmask_b32_e64 v88, v54, v88, s[40:41]                  // 0000000053BC: D1000058 00A2B136
	v_cmp_lt_u32_e64 s[40:41], v81, v64                        // 0000000053C4: D0C90028 00028151
	v_add_u32_e32 v81, 64, v81                                 // 0000000053CC: 68A2A2C0
	s_nop 0                                                    // 0000000053D0: BF800000
	v_cndmask_b32_e64 v89, v54, v89, s[40:41]                  // 0000000053D4: D1000059 00A2B336
	v_cmp_lt_u32_e64 s[40:41], v82, v64                        // 0000000053DC: D0C90028 00028152
	v_add_u32_e32 v82, 64, v82                                 // 0000000053E4: 68A4A4C0
	s_nop 0                                                    // 0000000053E8: BF800000
	v_cndmask_b32_e64 v90, v54, v90, s[40:41]                  // 0000000053EC: D100005A 00A2B536
	v_cmp_lt_u32_e64 s[40:41], v83, v64                        // 0000000053F4: D0C90028 00028153
	v_add_u32_e32 v83, 64, v83                                 // 0000000053FC: 68A6A6C0
	s_nop 0                                                    // 000000005400: BF800000
	v_cndmask_b32_e64 v91, v54, v91, s[40:41]                  // 000000005404: D100005B 00A2B736
	v_cmp_lt_u32_e64 s[40:41], v80, v64                        // 00000000540C: D0C90028 00028150
	v_add_u32_e32 v80, 64, v80                                 // 000000005414: 68A0A0C0
	s_nop 0                                                    // 000000005418: BF800000
	v_cndmask_b32_e64 v92, v54, v92, s[40:41]                  // 00000000541C: D100005C 00A2B936
	v_cmp_lt_u32_e64 s[40:41], v81, v64                        // 000000005424: D0C90028 00028151
	v_add_u32_e32 v81, 64, v81                                 // 00000000542C: 68A2A2C0
	s_nop 0                                                    // 000000005430: BF800000
	v_cndmask_b32_e64 v93, v54, v93, s[40:41]                  // 000000005434: D100005D 00A2BB36
	v_cmp_lt_u32_e64 s[40:41], v82, v64                        // 00000000543C: D0C90028 00028152
	v_add_u32_e32 v82, 64, v82                                 // 000000005444: 68A4A4C0
	s_nop 0                                                    // 000000005448: BF800000
	v_cndmask_b32_e64 v94, v54, v94, s[40:41]                  // 00000000544C: D100005E 00A2BD36
	v_cmp_lt_u32_e64 s[40:41], v83, v64                        // 000000005454: D0C90028 00028153
	v_add_u32_e32 v83, 64, v83                                 // 00000000545C: 68A6A6C0
	s_nop 0                                                    // 000000005460: BF800000
	v_cndmask_b32_e64 v95, v54, v95, s[40:41]                  // 000000005464: D100005F 00A2BF36
	v_cmp_lt_u32_e64 s[40:41], v80, v64                        // 00000000546C: D0C90028 00028150
	v_add_u32_e32 v80, 64, v80                                 // 000000005474: 68A0A0C0
	s_nop 0                                                    // 000000005478: BF800000
	v_cndmask_b32_e64 v96, v54, v96, s[40:41]                  // 00000000547C: D1000060 00A2C136
	v_cmp_lt_u32_e64 s[40:41], v81, v64                        // 000000005484: D0C90028 00028151
	v_add_u32_e32 v81, 64, v81                                 // 00000000548C: 68A2A2C0
	s_nop 0                                                    // 000000005490: BF800000
	v_cndmask_b32_e64 v97, v54, v97, s[40:41]                  // 000000005494: D1000061 00A2C336
	v_cmp_lt_u32_e64 s[40:41], v82, v64                        // 00000000549C: D0C90028 00028152
	v_add_u32_e32 v82, 64, v82                                 // 0000000054A4: 68A4A4C0
	s_nop 0                                                    // 0000000054A8: BF800000
	v_cndmask_b32_e64 v98, v54, v98, s[40:41]                  // 0000000054AC: D1000062 00A2C536
	v_cmp_lt_u32_e64 s[40:41], v83, v64                        // 0000000054B4: D0C90028 00028153
	v_add_u32_e32 v83, 64, v83                                 // 0000000054BC: 68A6A6C0
	s_nop 0                                                    // 0000000054C0: BF800000
	v_cndmask_b32_e64 v99, v54, v99, s[40:41]                  // 0000000054C4: D1000063 00A2C736
	v_cmp_lt_u32_e64 s[40:41], v80, v64                        // 0000000054CC: D0C90028 00028150
	v_add_u32_e32 v80, 64, v80                                 // 0000000054D4: 68A0A0C0
	s_nop 0                                                    // 0000000054D8: BF800000
	v_cndmask_b32_e64 v100, v54, v100, s[40:41]                // 0000000054DC: D1000064 00A2C936
	v_cmp_lt_u32_e64 s[40:41], v81, v64                        // 0000000054E4: D0C90028 00028151
	v_add_u32_e32 v81, 64, v81                                 // 0000000054EC: 68A2A2C0
	s_nop 0                                                    // 0000000054F0: BF800000
	v_cndmask_b32_e64 v101, v54, v101, s[40:41]                // 0000000054F4: D1000065 00A2CB36
	v_cmp_lt_u32_e64 s[40:41], v82, v64                        // 0000000054FC: D0C90028 00028152
	v_add_u32_e32 v82, 64, v82                                 // 000000005504: 68A4A4C0
	s_nop 0                                                    // 000000005508: BF800000
	v_cndmask_b32_e64 v102, v54, v102, s[40:41]                // 00000000550C: D1000066 00A2CD36
	v_cmp_lt_u32_e64 s[40:41], v83, v64                        // 000000005514: D0C90028 00028153
	v_add_u32_e32 v83, 64, v83                                 // 00000000551C: 68A6A6C0
	s_nop 0                                                    // 000000005520: BF800000
	v_cndmask_b32_e64 v103, v54, v103, s[40:41]                // 000000005524: D1000067 00A2CF36
	v_mov_b32_e32 v50, v88                                     // 00000000552C: 7E640358
	v_max3_f32 v50, v88, v89, v50                              // 000000005530: D1D30032 04CAB358
	v_max3_f32 v50, v90, v91, v50                              // 000000005538: D1D30032 04CAB75A
	v_max3_f32 v50, v92, v93, v50                              // 000000005540: D1D30032 04CABB5C
	v_max3_f32 v50, v94, v95, v50                              // 000000005548: D1D30032 04CABF5E
	v_max3_f32 v50, v96, v97, v50                              // 000000005550: D1D30032 04CAC360
	v_max3_f32 v50, v98, v99, v50                              // 000000005558: D1D30032 04CAC762
	v_max3_f32 v50, v100, v101, v50                            // 000000005560: D1D30032 04CACB64
	v_max3_f32 v50, v102, v103, v50                            // 000000005568: D1D30032 04CACF66
	ds_write_b32 v11, v50 offset:4224                          // 000000005570: D81A1080 0000320B
	v_mul_u32_u24_dpp v38, v17, v53 row_newbcast:1 row_mask:0xf bank_mask:0xf// 000000005578: 104C6AFA FF015111
	v_mul_u32_u24_dpp v39, v17, v53 row_newbcast:5 row_mask:0xf bank_mask:0xf// 000000005580: 104E6AFA FF015511
	v_mul_u32_u24_dpp v40, v17, v53 row_newbcast:9 row_mask:0xf bank_mask:0xf// 000000005588: 10506AFA FF015911
	v_mul_u32_u24_dpp v41, v17, v53 row_newbcast:13 row_mask:0xf bank_mask:0xf// 000000005590: 10526AFA FF015D11
	v_add_u32_e32 v34, v38, v7                                 // 000000005598: 68440F26
	v_add_u32_e32 v35, v39, v7                                 // 00000000559C: 68460F27
	v_add_u32_e32 v36, v40, v7                                 // 0000000055A0: 68480F28
	v_add_u32_e32 v37, v41, v7                                 // 0000000055A4: 684A0F29
	s_waitcnt lgkmcnt(0)                                       // 0000000055A8: BF8CC07F
	s_barrier                                                  // 0000000055AC: BF8A0000
	ds_read_b32 v64, v10 offset:4224                           // 0000000055B0: D86C1080 4000000A
	ds_read_b32 v65, v10 offset:4288                           // 0000000055B8: D86C10C0 4100000A
	ds_read_b32 v66, v10 offset:4352                           // 0000000055C0: D86C1100 4200000A
	ds_read_b32 v67, v10 offset:4416                           // 0000000055C8: D86C1140 4300000A
	ds_read_b32 v68, v10 offset:4480                           // 0000000055D0: D86C1180 4400000A
	ds_read_b32 v69, v10 offset:4544                           // 0000000055D8: D86C11C0 4500000A
	ds_read_b32 v70, v10 offset:4608                           // 0000000055E0: D86C1200 4600000A
	ds_read_b32 v71, v10 offset:4672                           // 0000000055E8: D86C1240 4700000A
	ds_read_b32 v72, v10 offset:4736                           // 0000000055F0: D86C1280 4800000A
	ds_read_b32 v73, v10 offset:4800                           // 0000000055F8: D86C12C0 4900000A
	ds_read_b32 v74, v10 offset:4864                           // 000000005600: D86C1300 4A00000A
	ds_read_b32 v75, v10 offset:4928                           // 000000005608: D86C1340 4B00000A
	ds_read_b32 v76, v10 offset:4992                           // 000000005610: D86C1380 4C00000A
	ds_read_b32 v77, v10 offset:5056                           // 000000005618: D86C13C0 4D00000A
	ds_read_b32 v78, v10 offset:5120                           // 000000005620: D86C1400 4E00000A
	ds_read_b32 v79, v10 offset:5184                           // 000000005628: D86C1440 4F00000A
	v_mul_f32_e32 v112, v51, v112                              // 000000005630: 0AE0E133
	v_mul_f32_e32 v113, v51, v113                              // 000000005634: 0AE2E333
	v_mul_f32_e32 v114, v51, v114                              // 000000005638: 0AE4E533
	v_mul_f32_e32 v115, v51, v115                              // 00000000563C: 0AE6E733
	v_mul_f32_e32 v116, v51, v116                              // 000000005640: 0AE8E933
	v_mul_f32_e32 v117, v51, v117                              // 000000005644: 0AEAEB33
	v_mul_f32_e32 v118, v51, v118                              // 000000005648: 0AECED33
	v_mul_f32_e32 v119, v51, v119                              // 00000000564C: 0AEEEF33
	s_waitcnt lgkmcnt(0)                                       // 000000005650: BF8CC07F
	v_max3_f32 v50, v64, v65, v50                              // 000000005654: D1D30032 04CA8340
	v_max3_f32 v50, v66, v67, v50                              // 00000000565C: D1D30032 04CA8742
	v_max3_f32 v50, v68, v69, v50                              // 000000005664: D1D30032 04CA8B44
	v_max3_f32 v50, v70, v71, v50                              // 00000000566C: D1D30032 04CA8F46
	v_max3_f32 v50, v72, v73, v50                              // 000000005674: D1D30032 04CA9348
	v_max3_f32 v50, v74, v75, v50                              // 00000000567C: D1D30032 04CA974A
	v_max3_f32 v50, v76, v77, v50                              // 000000005684: D1D30032 04CA9B4C
	v_max3_f32 v50, v78, v79, v50                              // 00000000568C: D1D30032 04CA9F4E
	v_cmp_eq_u32_e64 s[40:41], v54, v14                        // 000000005694: D0CA0028 00021D36
	s_nop 1                                                    // 00000000569C: BF800001
	v_max_f32_e32 v15, v50, v14                                // 0000000056A0: 161E1D32
	v_mul_f32_e32 v52, s64, v15                                // 0000000056A4: 0A681E40
	v_fma_f32 v88, v88, s64, -v52                              // 0000000056A8: D1CB0058 84D08158
	v_fma_f32 v89, v89, s64, -v52                              // 0000000056B0: D1CB0059 84D08159
	v_fma_f32 v90, v90, s64, -v52                              // 0000000056B8: D1CB005A 84D0815A
	v_fma_f32 v91, v91, s64, -v52                              // 0000000056C0: D1CB005B 84D0815B
	v_fma_f32 v92, v92, s64, -v52                              // 0000000056C8: D1CB005C 84D0815C
	v_fma_f32 v93, v93, s64, -v52                              // 0000000056D0: D1CB005D 84D0815D
	v_fma_f32 v94, v94, s64, -v52                              // 0000000056D8: D1CB005E 84D0815E
	v_fma_f32 v95, v95, s64, -v52                              // 0000000056E0: D1CB005F 84D0815F
	v_fma_f32 v96, v96, s64, -v52                              // 0000000056E8: D1CB0060 84D08160
	v_fma_f32 v97, v97, s64, -v52                              // 0000000056F0: D1CB0061 84D08161
	v_fma_f32 v98, v98, s64, -v52                              // 0000000056F8: D1CB0062 84D08162
	v_fma_f32 v99, v99, s64, -v52                              // 000000005700: D1CB0063 84D08163
	v_fma_f32 v100, v100, s64, -v52                            // 000000005708: D1CB0064 84D08164
	v_fma_f32 v101, v101, s64, -v52                            // 000000005710: D1CB0065 84D08165
	v_fma_f32 v102, v102, s64, -v52                            // 000000005718: D1CB0066 84D08166
	v_fma_f32 v103, v103, s64, -v52                            // 000000005720: D1CB0067 84D08167
	v_exp_f32_e32 v88, v88                                     // 000000005728: 7EB04158
	v_exp_f32_e32 v89, v89                                     // 00000000572C: 7EB24159
	v_exp_f32_e32 v90, v90                                     // 000000005730: 7EB4415A
	v_exp_f32_e32 v91, v91                                     // 000000005734: 7EB6415B
	v_exp_f32_e32 v92, v92                                     // 000000005738: 7EB8415C
	v_exp_f32_e32 v93, v93                                     // 00000000573C: 7EBA415D
	v_exp_f32_e32 v94, v94                                     // 000000005740: 7EBC415E
	v_exp_f32_e32 v95, v95                                     // 000000005744: 7EBE415F
	v_exp_f32_e32 v96, v96                                     // 000000005748: 7EC04160
	v_exp_f32_e32 v97, v97                                     // 00000000574C: 7EC24161
	v_exp_f32_e32 v98, v98                                     // 000000005750: 7EC44162
	v_exp_f32_e32 v99, v99                                     // 000000005754: 7EC64163
	v_exp_f32_e32 v100, v100                                   // 000000005758: 7EC84164
	v_exp_f32_e32 v101, v101                                   // 00000000575C: 7ECA4165
	v_exp_f32_e32 v102, v102                                   // 000000005760: 7ECC4166
	v_exp_f32_e32 v103, v103                                   // 000000005764: 7ECE4167
	v_mul_f32_dpp v128, v124, v88 quad_perm:[0,0,0,0] row_mask:0xf bank_mask:0xf// 000000005768: 0B00B0FA FF00007C
	v_mul_f32_dpp v129, v124, v89 quad_perm:[1,1,1,1] row_mask:0xf bank_mask:0xf// 000000005770: 0B02B2FA FF00557C
	v_mul_f32_dpp v130, v124, v90 quad_perm:[2,2,2,2] row_mask:0xf bank_mask:0xf// 000000005778: 0B04B4FA FF00AA7C
	v_mul_f32_dpp v131, v124, v91 quad_perm:[3,3,3,3] row_mask:0xf bank_mask:0xf// 000000005780: 0B06B6FA FF00FF7C
	v_mul_f32_dpp v132, v125, v92 quad_perm:[0,0,0,0] row_mask:0xf bank_mask:0xf// 000000005788: 0B08B8FA FF00007D
	v_mul_f32_dpp v133, v125, v93 quad_perm:[1,1,1,1] row_mask:0xf bank_mask:0xf// 000000005790: 0B0ABAFA FF00557D
	v_mul_f32_dpp v134, v125, v94 quad_perm:[2,2,2,2] row_mask:0xf bank_mask:0xf// 000000005798: 0B0CBCFA FF00AA7D
	v_mul_f32_dpp v135, v125, v95 quad_perm:[3,3,3,3] row_mask:0xf bank_mask:0xf// 0000000057A0: 0B0EBEFA FF00FF7D
	v_mul_f32_dpp v136, v126, v96 quad_perm:[0,0,0,0] row_mask:0xf bank_mask:0xf// 0000000057A8: 0B10C0FA FF00007E
	v_mul_f32_dpp v137, v126, v97 quad_perm:[1,1,1,1] row_mask:0xf bank_mask:0xf// 0000000057B0: 0B12C2FA FF00557E
	v_mul_f32_dpp v138, v126, v98 quad_perm:[2,2,2,2] row_mask:0xf bank_mask:0xf// 0000000057B8: 0B14C4FA FF00AA7E
	v_mul_f32_dpp v139, v126, v99 quad_perm:[3,3,3,3] row_mask:0xf bank_mask:0xf// 0000000057C0: 0B16C6FA FF00FF7E
	v_mul_f32_dpp v140, v127, v100 quad_perm:[0,0,0,0] row_mask:0xf bank_mask:0xf// 0000000057C8: 0B18C8FA FF00007F
	v_mul_f32_dpp v141, v127, v101 quad_perm:[1,1,1,1] row_mask:0xf bank_mask:0xf// 0000000057D0: 0B1ACAFA FF00557F
	v_mul_f32_dpp v142, v127, v102 quad_perm:[2,2,2,2] row_mask:0xf bank_mask:0xf// 0000000057D8: 0B1CCCFA FF00AA7F
	v_mul_f32_dpp v143, v127, v103 quad_perm:[3,3,3,3] row_mask:0xf bank_mask:0xf// 0000000057E0: 0B1ECEFA FF00FF7F
	v_mov_b32_e32 v50, 0x358637bd                              // 0000000057E8: 7E6402FF 358637BD
	v_max3_f32 v50, |v128|, |v129|, v50                        // 0000000057F0: D1D30332 04CB0380
	v_max3_f32 v50, |v130|, |v131|, v50                        // 0000000057F8: D1D30332 04CB0782
	v_max3_f32 v50, |v132|, |v133|, v50                        // 000000005800: D1D30332 04CB0B84
	v_max3_f32 v50, |v134|, |v135|, v50                        // 000000005808: D1D30332 04CB0F86
	v_max3_f32 v50, |v136|, |v137|, v50                        // 000000005810: D1D30332 04CB1388
	v_max3_f32 v50, |v138|, |v139|, v50                        // 000000005818: D1D30332 04CB178A
	v_max3_f32 v50, |v140|, |v141|, v50                        // 000000005820: D1D30332 04CB1B8C
	v_max3_f32 v50, |v142|, |v143|, v50                        // 000000005828: D1D30332 04CB1F8E
	ds_write_b32 v11, v50 offset:5248                          // 000000005830: D81A1480 0000320B
	v_sub_f32_e32 v51, v14, v15                                // 000000005838: 04661F0E
	v_cndmask_b32_e64 v51, v51, 0, s[40:41]                    // 00000000583C: D1000033 00A10133
	v_mov_b32_e32 v14, v15                                     // 000000005844: 7E1C030F
	v_mul_f32_e32 v51, s64, v51                                // 000000005848: 0A666640
	v_exp_f32_e32 v51, v51                                     // 00000000584C: 7E664133
	s_waitcnt lgkmcnt(0)                                       // 000000005850: BF8CC07F
	s_barrier                                                  // 000000005854: BF8A0000
	ds_read_b32 v64, v10 offset:5248                           // 000000005858: D86C1480 4000000A
	ds_read_b32 v65, v10 offset:5312                           // 000000005860: D86C14C0 4100000A
	ds_read_b32 v66, v10 offset:5376                           // 000000005868: D86C1500 4200000A
	ds_read_b32 v67, v10 offset:5440                           // 000000005870: D86C1540 4300000A
	ds_read_b32 v68, v10 offset:5504                           // 000000005878: D86C1580 4400000A
	ds_read_b32 v69, v10 offset:5568                           // 000000005880: D86C15C0 4500000A
	ds_read_b32 v70, v10 offset:5632                           // 000000005888: D86C1600 4600000A
	ds_read_b32 v71, v10 offset:5696                           // 000000005890: D86C1640 4700000A
	ds_read_b32 v72, v10 offset:5760                           // 000000005898: D86C1680 4800000A
	ds_read_b32 v73, v10 offset:5824                           // 0000000058A0: D86C16C0 4900000A
	ds_read_b32 v74, v10 offset:5888                           // 0000000058A8: D86C1700 4A00000A
	ds_read_b32 v75, v10 offset:5952                           // 0000000058B0: D86C1740 4B00000A
	ds_read_b32 v76, v10 offset:6016                           // 0000000058B8: D86C1780 4C00000A
	ds_read_b32 v77, v10 offset:6080                           // 0000000058C0: D86C17C0 4D00000A
	ds_read_b32 v78, v10 offset:6144                           // 0000000058C8: D86C1800 4E00000A
	ds_read_b32 v79, v10 offset:6208                           // 0000000058D0: D86C1840 4F00000A
	v_mul_f32_e32 v44, v51, v44                                // 0000000058D8: 0A585933
	v_mov_b32_e32 v45, v88                                     // 0000000058DC: 7E5A0358
	v_add_f32_e32 v45, v89, v45                                // 0000000058E0: 025A5B59
	v_add_f32_e32 v45, v90, v45                                // 0000000058E4: 025A5B5A
	v_add_f32_e32 v45, v91, v45                                // 0000000058E8: 025A5B5B
	v_add_f32_e32 v45, v92, v45                                // 0000000058EC: 025A5B5C
	v_add_f32_e32 v45, v93, v45                                // 0000000058F0: 025A5B5D
	v_add_f32_e32 v45, v94, v45                                // 0000000058F4: 025A5B5E
	v_add_f32_e32 v45, v95, v45                                // 0000000058F8: 025A5B5F
	v_add_f32_e32 v45, v96, v45                                // 0000000058FC: 025A5B60
	v_add_f32_e32 v45, v97, v45                                // 000000005900: 025A5B61
	v_add_f32_e32 v45, v98, v45                                // 000000005904: 025A5B62
	v_add_f32_e32 v45, v99, v45                                // 000000005908: 025A5B63
	v_add_f32_e32 v45, v100, v45                               // 00000000590C: 025A5B64
	v_add_f32_e32 v45, v101, v45                               // 000000005910: 025A5B65
	v_add_f32_e32 v45, v102, v45                               // 000000005914: 025A5B66
	v_add_f32_e32 v45, v103, v45                               // 000000005918: 025A5B67
	v_add_f32_e32 v44, v45, v44                                // 00000000591C: 0258592D
	s_waitcnt lgkmcnt(0)                                       // 000000005920: BF8CC07F
	v_max3_f32 v50, |v64|, |v65|, v50                          // 000000005924: D1D30332 04CA8340
	v_max3_f32 v50, |v66|, |v67|, v50                          // 00000000592C: D1D30332 04CA8742
	v_max3_f32 v50, |v68|, |v69|, v50                          // 000000005934: D1D30332 04CA8B44
	v_max3_f32 v50, |v70|, |v71|, v50                          // 00000000593C: D1D30332 04CA8F46
	v_max3_f32 v50, |v72|, |v73|, v50                          // 000000005944: D1D30332 04CA9348
	v_max3_f32 v50, |v74|, |v75|, v50                          // 00000000594C: D1D30332 04CA974A
	v_max3_f32 v50, |v76|, |v77|, v50                          // 000000005954: D1D30332 04CA9B4C
	v_max3_f32 v50, |v78|, |v79|, v50                          // 00000000595C: D1D30332 04CA9F4E
	s_nop 2                                                    // 000000005964: BF800002
	v_rcp_f32_e32 v50, v50                                     // 000000005968: 7E644532
	s_nop 1                                                    // 00000000596C: BF800001
	v_mul_f32_e32 v50, 0x42fe0000, v50                         // 000000005970: 0A6464FF 42FE0000
	v_mul_f32_e32 v88, v50, v128                               // 000000005978: 0AB10132
	v_mul_f32_e32 v89, v50, v129                               // 00000000597C: 0AB30332
	v_mul_f32_e32 v90, v50, v130                               // 000000005980: 0AB50532
	v_mul_f32_e32 v91, v50, v131                               // 000000005984: 0AB70732
	v_mul_f32_e32 v92, v50, v132                               // 000000005988: 0AB90932
	v_mul_f32_e32 v93, v50, v133                               // 00000000598C: 0ABB0B32
	v_mul_f32_e32 v94, v50, v134                               // 000000005990: 0ABD0D32
	v_mul_f32_e32 v95, v50, v135                               // 000000005994: 0ABF0F32
	v_mul_f32_e32 v96, v50, v136                               // 000000005998: 0AC11132
	v_mul_f32_e32 v97, v50, v137                               // 00000000599C: 0AC31332
	v_mul_f32_e32 v98, v50, v138                               // 0000000059A0: 0AC51532
	v_mul_f32_e32 v99, v50, v139                               // 0000000059A4: 0AC71732
	v_mul_f32_e32 v100, v50, v140                              // 0000000059A8: 0AC91932
	v_mul_f32_e32 v101, v50, v141                              // 0000000059AC: 0ACB1B32
	v_mul_f32_e32 v102, v50, v142                              // 0000000059B0: 0ACD1D32
	v_mul_f32_e32 v103, v50, v143                              // 0000000059B4: 0ACF1F32
	v_cvt_i32_f32_e32 v88, v88                                 // 0000000059B8: 7EB01158
	v_cvt_i32_f32_e32 v89, v89                                 // 0000000059BC: 7EB21159
	v_cvt_i32_f32_e32 v90, v90                                 // 0000000059C0: 7EB4115A
	v_cvt_i32_f32_e32 v91, v91                                 // 0000000059C4: 7EB6115B
	v_cvt_i32_f32_e32 v92, v92                                 // 0000000059C8: 7EB8115C
	v_cvt_i32_f32_e32 v93, v93                                 // 0000000059CC: 7EBA115D
	v_cvt_i32_f32_e32 v94, v94                                 // 0000000059D0: 7EBC115E
	v_cvt_i32_f32_e32 v95, v95                                 // 0000000059D4: 7EBE115F
	v_cvt_i32_f32_e32 v96, v96                                 // 0000000059D8: 7EC01160
	v_cvt_i32_f32_e32 v97, v97                                 // 0000000059DC: 7EC21161
	v_cvt_i32_f32_e32 v98, v98                                 // 0000000059E0: 7EC41162
	v_cvt_i32_f32_e32 v99, v99                                 // 0000000059E4: 7EC61163
	v_cvt_i32_f32_e32 v100, v100                               // 0000000059E8: 7EC81164
	v_cvt_i32_f32_e32 v101, v101                               // 0000000059EC: 7ECA1165
	v_cvt_i32_f32_e32 v102, v102                               // 0000000059F0: 7ECC1166
	v_cvt_i32_f32_e32 v103, v103                               // 0000000059F4: 7ECE1167
	v_perm_b32 v88, v89, v88, s53                              // 0000000059F8: D1ED0058 00D6B159
	v_perm_b32 v88, v90, v88, s54                              // 000000005A00: D1ED0058 00DAB15A
	v_perm_b32 v88, v91, v88, s55                              // 000000005A08: D1ED0058 00DEB15B
	v_perm_b32 v89, v93, v92, s53                              // 000000005A10: D1ED0059 00D6B95D
	v_perm_b32 v89, v94, v89, s54                              // 000000005A18: D1ED0059 00DAB35E
	v_perm_b32 v89, v95, v89, s55                              // 000000005A20: D1ED0059 00DEB35F
	v_perm_b32 v90, v97, v96, s53                              // 000000005A28: D1ED005A 00D6C161
	v_perm_b32 v90, v98, v90, s54                              // 000000005A30: D1ED005A 00DAB562
	v_perm_b32 v90, v99, v90, s55                              // 000000005A38: D1ED005A 00DEB563
	v_perm_b32 v91, v101, v100, s53                            // 000000005A40: D1ED005B 00D6C965
	v_perm_b32 v91, v102, v91, s54                             // 000000005A48: D1ED005B 00DAB766
	v_perm_b32 v91, v103, v91, s55                             // 000000005A50: D1ED005B 00DEB767
	ds_write_b32 v13, v88 offset:6272                          // 000000005A58: D81A1880 0000580D
	ds_write_b32 v13, v89 offset:7296                          // 000000005A60: D81A1C80 0000590D
	ds_write_b32 v13, v90 offset:8320                          // 000000005A68: D81A2080 00005A0D
	ds_write_b32 v13, v91 offset:9344                          // 000000005A70: D81A2480 00005B0D
	v_cvt_f32_i32_e32 v104, v104                               // 000000005A78: 7ED00B68
	v_cvt_f32_i32_e32 v105, v105                               // 000000005A7C: 7ED20B69
	v_cvt_f32_i32_e32 v106, v106                               // 000000005A80: 7ED40B6A
	v_cvt_f32_i32_e32 v107, v107                               // 000000005A84: 7ED60B6B
	v_cvt_f32_i32_e32 v108, v108                               // 000000005A88: 7ED80B6C
	v_cvt_f32_i32_e32 v109, v109                               // 000000005A8C: 7EDA0B6D
	v_cvt_f32_i32_e32 v110, v110                               // 000000005A90: 7EDC0B6E
	v_cvt_f32_i32_e32 v111, v111                               // 000000005A94: 7EDE0B6F
	v_mul_f32_e32 v104, v49, v104                              // 000000005A98: 0AD0D131
	v_mul_f32_e32 v105, v49, v105                              // 000000005A9C: 0AD2D331
	v_mul_f32_e32 v106, v49, v106                              // 000000005AA0: 0AD4D531
	v_mul_f32_e32 v107, v49, v107                              // 000000005AA4: 0AD6D731
	v_mul_f32_e32 v108, v49, v108                              // 000000005AA8: 0AD8D931
	v_mul_f32_e32 v109, v49, v109                              // 000000005AAC: 0ADADB31
	v_mul_f32_e32 v110, v49, v110                              // 000000005AB0: 0ADCDD31
	v_mul_f32_e32 v111, v49, v111                              // 000000005AB4: 0ADEDF31
	v_rcp_f32_e32 v49, v50                                     // 000000005AB8: 7E624532
	s_waitcnt lgkmcnt(0)                                       // 000000005ABC: BF8CC07F
	s_barrier                                                  // 000000005AC0: BF8A0000
	ds_read_b64 v[88:89], v12 offset:6272                      // 000000005AC4: D8EC1880 5800000C
	ds_read_b64 v[90:91], v12 offset:6400                      // 000000005ACC: D8EC1900 5A00000C
	ds_read_b64 v[92:93], v12 offset:7296                      // 000000005AD4: D8EC1C80 5C00000C
	ds_read_b64 v[94:95], v12 offset:7424                      // 000000005ADC: D8EC1D00 5E00000C
	ds_read_b64 v[96:97], v12 offset:8320                      // 000000005AE4: D8EC2080 6000000C
	ds_read_b64 v[98:99], v12 offset:8448                      // 000000005AEC: D8EC2100 6200000C
	ds_read_b64 v[100:101], v12 offset:9344                    // 000000005AF4: D8EC2480 6400000C
	ds_read_b64 v[102:103], v12 offset:9472                    // 000000005AFC: D8EC2500 6600000C
	v_add_f32_e32 v112, v112, v104                             // 000000005B04: 02E0D170
	v_add_f32_e32 v113, v113, v105                             // 000000005B08: 02E2D371
	v_add_f32_e32 v114, v114, v106                             // 000000005B0C: 02E4D572
	v_add_f32_e32 v115, v115, v107                             // 000000005B10: 02E6D773
	v_add_f32_e32 v116, v116, v108                             // 000000005B14: 02E8D974
	v_add_f32_e32 v117, v117, v109                             // 000000005B18: 02EADB75
	v_add_f32_e32 v118, v118, v110                             // 000000005B1C: 02ECDD76
	v_add_f32_e32 v119, v119, v111                             // 000000005B20: 02EEDF77
	s_waitcnt vmcnt(0)                                         // 000000005B24: BF8C0F70
	s_barrier                                                  // 000000005B28: BF8A0000
	v_mfma_i32_16x16x32_i8 v[104:107], v[192:193], v[88:89], 0 // 000000005B2C: D3D70068 0202B1C0
	v_mfma_i32_16x16x32_i8 v[104:107], v[194:195], v[90:91], v[104:107]// 000000005B34: D3D70068 05A2B5C2
	v_mfma_i32_16x16x32_i8 v[104:107], v[196:197], v[92:93], v[104:107]// 000000005B3C: D3D70068 05A2B9C4
	v_mfma_i32_16x16x32_i8 v[104:107], v[198:199], v[94:95], v[104:107]// 000000005B44: D3D70068 05A2BDC6
	v_mfma_i32_16x16x32_i8 v[104:107], v[200:201], v[96:97], v[104:107]// 000000005B4C: D3D70068 05A2C1C8
	v_mfma_i32_16x16x32_i8 v[104:107], v[202:203], v[98:99], v[104:107]// 000000005B54: D3D70068 05A2C5CA
	v_mfma_i32_16x16x32_i8 v[104:107], v[204:205], v[100:101], v[104:107]// 000000005B5C: D3D70068 05A2C9CC
	v_mfma_i32_16x16x32_i8 v[104:107], v[206:207], v[102:103], v[104:107]// 000000005B64: D3D70068 05A2CDCE
	v_mfma_i32_16x16x32_i8 v[108:111], v[208:209], v[88:89], 0 // 000000005B6C: D3D7006C 0202B1D0
	v_mfma_i32_16x16x32_i8 v[108:111], v[210:211], v[90:91], v[108:111]// 000000005B74: D3D7006C 05B2B5D2
	v_mfma_i32_16x16x32_i8 v[108:111], v[212:213], v[92:93], v[108:111]// 000000005B7C: D3D7006C 05B2B9D4
	v_mfma_i32_16x16x32_i8 v[108:111], v[214:215], v[94:95], v[108:111]// 000000005B84: D3D7006C 05B2BDD6
	v_mfma_i32_16x16x32_i8 v[108:111], v[216:217], v[96:97], v[108:111]// 000000005B8C: D3D7006C 05B2C1D8
	v_mfma_i32_16x16x32_i8 v[108:111], v[218:219], v[98:99], v[108:111]// 000000005B94: D3D7006C 05B2C5DA
	v_mfma_i32_16x16x32_i8 v[108:111], v[220:221], v[100:101], v[108:111]// 000000005B9C: D3D7006C 05B2C9DC
	v_mfma_i32_16x16x32_i8 v[108:111], v[222:223], v[102:103], v[108:111]// 000000005BA4: D3D7006C 05B2CDDE
	s_nop 4                                                    // 000000005BAC: BF800004
	s_branch label_114F                                        // 000000005BB0: BF8202A2

0000000000005bb4 <label_0EAD>:
	s_waitcnt vmcnt(8) lgkmcnt(0)                              // 000000005BB4: BF8C0078
	s_barrier                                                  // 000000005BB8: BF8A0000
	v_mfma_i32_16x16x32_i8 v[88:91], v[160:161], v[80:81], 0   // 000000005BBC: D3D70058 0202A1A0
	v_mfma_i32_16x16x32_i8 v[88:91], v[162:163], v[82:83], v[88:91]// 000000005BC4: D3D70058 0562A5A2
	v_mfma_i32_16x16x32_i8 v[88:91], v[164:165], v[84:85], v[88:91]// 000000005BCC: D3D70058 0562A9A4
	v_mfma_i32_16x16x32_i8 v[88:91], v[166:167], v[86:87], v[88:91]// 000000005BD4: D3D70058 0562ADA6
	v_mfma_i32_16x16x32_i8 v[92:95], v[168:169], v[80:81], 0   // 000000005BDC: D3D7005C 0202A1A8
	v_mfma_i32_16x16x32_i8 v[92:95], v[170:171], v[82:83], v[92:95]// 000000005BE4: D3D7005C 0572A5AA
	v_mfma_i32_16x16x32_i8 v[92:95], v[172:173], v[84:85], v[92:95]// 000000005BEC: D3D7005C 0572A9AC
	v_mfma_i32_16x16x32_i8 v[92:95], v[174:175], v[86:87], v[92:95]// 000000005BF4: D3D7005C 0572ADAE
	v_mfma_i32_16x16x32_i8 v[96:99], v[176:177], v[80:81], 0   // 000000005BFC: D3D70060 0202A1B0
	v_mfma_i32_16x16x32_i8 v[96:99], v[178:179], v[82:83], v[96:99]// 000000005C04: D3D70060 0582A5B2
	v_mfma_i32_16x16x32_i8 v[96:99], v[180:181], v[84:85], v[96:99]// 000000005C0C: D3D70060 0582A9B4
	v_mfma_i32_16x16x32_i8 v[96:99], v[182:183], v[86:87], v[96:99]// 000000005C14: D3D70060 0582ADB6
	v_mfma_i32_16x16x32_i8 v[100:103], v[184:185], v[80:81], 0 // 000000005C1C: D3D70064 0202A1B8
	v_mfma_i32_16x16x32_i8 v[100:103], v[186:187], v[82:83], v[100:103]// 000000005C24: D3D70064 0592A5BA
	v_mfma_i32_16x16x32_i8 v[100:103], v[188:189], v[84:85], v[100:103]// 000000005C2C: D3D70064 0592A9BC
	v_mfma_i32_16x16x32_i8 v[100:103], v[190:191], v[86:87], v[100:103]// 000000005C34: D3D70064 0592ADBE
	v_mov_b32_dpp v38, v47 row_shr:4 row_mask:0xf bank_mask:0xf// 000000005C3C: 7E4C02FA FF01142F
	v_mov_b32_dpp v39, v47 row_shl:4 row_mask:0xf bank_mask:0xf// 000000005C44: 7E4E02FA FF01042F
	v_cndmask_b32_e64 v120, v47, v38, s[44:45]                 // 000000005C4C: D1000078 00B24D2F
	v_cndmask_b32_e64 v121, v39, v47, s[44:45]                 // 000000005C54: D1000079 00B25F27
	v_mov_b32_dpp v38, v120 row_shr:8 row_mask:0xf bank_mask:0xf// 000000005C5C: 7E4C02FA FF011878
	v_mov_b32_dpp v39, v120 row_shl:8 row_mask:0xf bank_mask:0xf// 000000005C64: 7E4E02FA FF010878
	v_mov_b32_dpp v40, v121 row_shr:8 row_mask:0xf bank_mask:0xf// 000000005C6C: 7E5002FA FF011879
	v_mov_b32_dpp v41, v121 row_shl:8 row_mask:0xf bank_mask:0xf// 000000005C74: 7E5202FA FF010879
	v_mov_b32_e32 v42, v120                                    // 000000005C7C: 7E540378
	v_mov_b32_e32 v43, v121                                    // 000000005C80: 7E560379
	v_cndmask_b32_e64 v120, v42, v38, s[42:43]                 // 000000005C84: D1000078 00AA4D2A
	v_cndmask_b32_e64 v122, v42, v39, s[78:79]                 // 000000005C8C: D100007A 013A4F2A
	v_cndmask_b32_e64 v121, v43, v40, s[42:43]                 // 000000005C94: D1000079 00AA512B
	v_cndmask_b32_e64 v123, v43, v41, s[78:79]                 // 000000005C9C: D100007B 013A532B
	v_mov_b32_dpp v38, v58 row_shr:4 row_mask:0xf bank_mask:0xf// 000000005CA4: 7E4C02FA FF01143A
	v_mov_b32_dpp v39, v58 row_shl:4 row_mask:0xf bank_mask:0xf// 000000005CAC: 7E4E02FA FF01043A
	v_cndmask_b32_e64 v124, v58, v38, s[44:45]                 // 000000005CB4: D100007C 00B24D3A
	v_cndmask_b32_e64 v125, v39, v58, s[44:45]                 // 000000005CBC: D100007D 00B27527
	v_mov_b32_dpp v38, v124 row_shr:8 row_mask:0xf bank_mask:0xf// 000000005CC4: 7E4C02FA FF01187C
	v_mov_b32_dpp v39, v124 row_shl:8 row_mask:0xf bank_mask:0xf// 000000005CCC: 7E4E02FA FF01087C
	v_mov_b32_dpp v40, v125 row_shr:8 row_mask:0xf bank_mask:0xf// 000000005CD4: 7E5002FA FF01187D
	v_mov_b32_dpp v41, v125 row_shl:8 row_mask:0xf bank_mask:0xf// 000000005CDC: 7E5202FA FF01087D
	v_mov_b32_e32 v42, v124                                    // 000000005CE4: 7E54037C
	v_mov_b32_e32 v43, v125                                    // 000000005CE8: 7E56037D
	v_cndmask_b32_e64 v124, v42, v38, s[42:43]                 // 000000005CEC: D100007C 00AA4D2A
	v_cndmask_b32_e64 v126, v42, v39, s[78:79]                 // 000000005CF4: D100007E 013A4F2A
	v_cndmask_b32_e64 v125, v43, v40, s[42:43]                 // 000000005CFC: D100007D 00AA512B
	v_cndmask_b32_e64 v127, v43, v41, s[78:79]                 // 000000005D04: D100007F 013A532B
	v_cvt_f32_i32_e32 v88, v88                                 // 000000005D0C: 7EB00B58
	v_cvt_f32_i32_e32 v89, v89                                 // 000000005D10: 7EB20B59
	v_cvt_f32_i32_e32 v90, v90                                 // 000000005D14: 7EB40B5A
	v_cvt_f32_i32_e32 v91, v91                                 // 000000005D18: 7EB60B5B
	v_cvt_f32_i32_e32 v92, v92                                 // 000000005D1C: 7EB80B5C
	v_cvt_f32_i32_e32 v93, v93                                 // 000000005D20: 7EBA0B5D
	v_cvt_f32_i32_e32 v94, v94                                 // 000000005D24: 7EBC0B5E
	v_cvt_f32_i32_e32 v95, v95                                 // 000000005D28: 7EBE0B5F
	v_cvt_f32_i32_e32 v96, v96                                 // 000000005D2C: 7EC00B60
	v_cvt_f32_i32_e32 v97, v97                                 // 000000005D30: 7EC20B61
	v_cvt_f32_i32_e32 v98, v98                                 // 000000005D34: 7EC40B62
	v_cvt_f32_i32_e32 v99, v99                                 // 000000005D38: 7EC60B63
	v_cvt_f32_i32_e32 v100, v100                               // 000000005D3C: 7EC80B64
	v_cvt_f32_i32_e32 v101, v101                               // 000000005D40: 7ECA0B65
	v_cvt_f32_i32_e32 v102, v102                               // 000000005D44: 7ECC0B66
	v_cvt_f32_i32_e32 v103, v103                               // 000000005D48: 7ECE0B67
	v_mul_f32_e32 v88, v48, v88                                // 000000005D4C: 0AB0B130
	v_mul_f32_e32 v89, v48, v89                                // 000000005D50: 0AB2B330
	v_mul_f32_e32 v90, v48, v90                                // 000000005D54: 0AB4B530
	v_mul_f32_e32 v91, v48, v91                                // 000000005D58: 0AB6B730
	v_mul_f32_e32 v92, v48, v92                                // 000000005D5C: 0AB8B930
	v_mul_f32_e32 v93, v48, v93                                // 000000005D60: 0ABABB30
	v_mul_f32_e32 v94, v48, v94                                // 000000005D64: 0ABCBD30
	v_mul_f32_e32 v95, v48, v95                                // 000000005D68: 0ABEBF30
	v_mul_f32_e32 v96, v48, v96                                // 000000005D6C: 0AC0C130
	v_mul_f32_e32 v97, v48, v97                                // 000000005D70: 0AC2C330
	v_mul_f32_e32 v98, v48, v98                                // 000000005D74: 0AC4C530
	v_mul_f32_e32 v99, v48, v99                                // 000000005D78: 0AC6C730
	v_mul_f32_e32 v100, v48, v100                              // 000000005D7C: 0AC8C930
	v_mul_f32_e32 v101, v48, v101                              // 000000005D80: 0ACACB30
	v_mul_f32_e32 v102, v48, v102                              // 000000005D84: 0ACCCD30
	v_mul_f32_e32 v103, v48, v103                              // 000000005D88: 0ACECF30
	v_mul_f32_dpp v88, v120, v88 quad_perm:[0,0,0,0] row_mask:0xf bank_mask:0xf// 000000005D8C: 0AB0B0FA FF000078
	v_mul_f32_dpp v89, v120, v89 quad_perm:[1,1,1,1] row_mask:0xf bank_mask:0xf// 000000005D94: 0AB2B2FA FF005578
	v_mul_f32_dpp v90, v120, v90 quad_perm:[2,2,2,2] row_mask:0xf bank_mask:0xf// 000000005D9C: 0AB4B4FA FF00AA78
	v_mul_f32_dpp v91, v120, v91 quad_perm:[3,3,3,3] row_mask:0xf bank_mask:0xf// 000000005DA4: 0AB6B6FA FF00FF78
	v_mul_f32_dpp v92, v121, v92 quad_perm:[0,0,0,0] row_mask:0xf bank_mask:0xf// 000000005DAC: 0AB8B8FA FF000079
	v_mul_f32_dpp v93, v121, v93 quad_perm:[1,1,1,1] row_mask:0xf bank_mask:0xf// 000000005DB4: 0ABABAFA FF005579
	v_mul_f32_dpp v94, v121, v94 quad_perm:[2,2,2,2] row_mask:0xf bank_mask:0xf// 000000005DBC: 0ABCBCFA FF00AA79
	v_mul_f32_dpp v95, v121, v95 quad_perm:[3,3,3,3] row_mask:0xf bank_mask:0xf// 000000005DC4: 0ABEBEFA FF00FF79
	v_mul_f32_dpp v96, v122, v96 quad_perm:[0,0,0,0] row_mask:0xf bank_mask:0xf// 000000005DCC: 0AC0C0FA FF00007A
	v_mul_f32_dpp v97, v122, v97 quad_perm:[1,1,1,1] row_mask:0xf bank_mask:0xf// 000000005DD4: 0AC2C2FA FF00557A
	v_mul_f32_dpp v98, v122, v98 quad_perm:[2,2,2,2] row_mask:0xf bank_mask:0xf// 000000005DDC: 0AC4C4FA FF00AA7A
	v_mul_f32_dpp v99, v122, v99 quad_perm:[3,3,3,3] row_mask:0xf bank_mask:0xf// 000000005DE4: 0AC6C6FA FF00FF7A
	v_mul_f32_dpp v100, v123, v100 quad_perm:[0,0,0,0] row_mask:0xf bank_mask:0xf// 000000005DEC: 0AC8C8FA FF00007B
	v_mul_f32_dpp v101, v123, v101 quad_perm:[1,1,1,1] row_mask:0xf bank_mask:0xf// 000000005DF4: 0ACACAFA FF00557B
	v_mul_f32_dpp v102, v123, v102 quad_perm:[2,2,2,2] row_mask:0xf bank_mask:0xf// 000000005DFC: 0ACCCCFA FF00AA7B
	v_mul_f32_dpp v103, v123, v103 quad_perm:[3,3,3,3] row_mask:0xf bank_mask:0xf// 000000005E04: 0ACECEFA FF00FF7B
	s_and_b32 s60, s72, 0xff                                   // 000000005E0C: 863CFF48 000000FF
	v_mov_b32_e32 v64, s60                                     // 000000005E14: 7E80023C
	v_lshrrev_b32_e32 v80, 4, v0                               // 000000005E18: 20A00084
	v_mul_i32_i24_e32 v80, 4, v80                              // 000000005E1C: 0CA0A084
	s_mul_i32 s60, s7, 16                                      // 000000005E20: 923C9007
	v_add_u32_e32 v80, s60, v80                                // 000000005E24: 68A0A03C
	v_add_u32_e32 v81, 1, v80                                  // 000000005E28: 68A2A081
	v_add_u32_e32 v82, 2, v80                                  // 000000005E2C: 68A4A082
	v_add_u32_e32 v83, 3, v80                                  // 000000005E30: 68A6A083
	v_cmp_lt_u32_e64 s[40:41], v80, v64                        // 000000005E34: D0C90028 00028150
	v_add_u32_e32 v80, 64, v80                                 // 000000005E3C: 68A0A0C0
	s_nop 0                                                    // 000000005E40: BF800000
	v_cndmask_b32_e64 v88, v54, v88, s[40:41]                  // 000000005E44: D1000058 00A2B136
	v_cmp_lt_u32_e64 s[40:41], v81, v64                        // 000000005E4C: D0C90028 00028151
	v_add_u32_e32 v81, 64, v81                                 // 000000005E54: 68A2A2C0
	s_nop 0                                                    // 000000005E58: BF800000
	v_cndmask_b32_e64 v89, v54, v89, s[40:41]                  // 000000005E5C: D1000059 00A2B336
	v_cmp_lt_u32_e64 s[40:41], v82, v64                        // 000000005E64: D0C90028 00028152
	v_add_u32_e32 v82, 64, v82                                 // 000000005E6C: 68A4A4C0
	s_nop 0                                                    // 000000005E70: BF800000
	v_cndmask_b32_e64 v90, v54, v90, s[40:41]                  // 000000005E74: D100005A 00A2B536
	v_cmp_lt_u32_e64 s[40:41], v83, v64                        // 000000005E7C: D0C90028 00028153
	v_add_u32_e32 v83, 64, v83                                 // 000000005E84: 68A6A6C0
	s_nop 0                                                    // 000000005E88: BF800000
	v_cndmask_b32_e64 v91, v54, v91, s[40:41]                  // 000000005E8C: D100005B 00A2B736
	v_cmp_lt_u32_e64 s[40:41], v80, v64                        // 000000005E94: D0C90028 00028150
	v_add_u32_e32 v80, 64, v80                                 // 000000005E9C: 68A0A0C0
	s_nop 0                                                    // 000000005EA0: BF800000
	v_cndmask_b32_e64 v92, v54, v92, s[40:41]                  // 000000005EA4: D100005C 00A2B936
	v_cmp_lt_u32_e64 s[40:41], v81, v64                        // 000000005EAC: D0C90028 00028151
	v_add_u32_e32 v81, 64, v81                                 // 000000005EB4: 68A2A2C0
	s_nop 0                                                    // 000000005EB8: BF800000
	v_cndmask_b32_e64 v93, v54, v93, s[40:41]                  // 000000005EBC: D100005D 00A2BB36
	v_cmp_lt_u32_e64 s[40:41], v82, v64                        // 000000005EC4: D0C90028 00028152
	v_add_u32_e32 v82, 64, v82                                 // 000000005ECC: 68A4A4C0
	s_nop 0                                                    // 000000005ED0: BF800000
	v_cndmask_b32_e64 v94, v54, v94, s[40:41]                  // 000000005ED4: D100005E 00A2BD36
	v_cmp_lt_u32_e64 s[40:41], v83, v64                        // 000000005EDC: D0C90028 00028153
	v_add_u32_e32 v83, 64, v83                                 // 000000005EE4: 68A6A6C0
	s_nop 0                                                    // 000000005EE8: BF800000
	v_cndmask_b32_e64 v95, v54, v95, s[40:41]                  // 000000005EEC: D100005F 00A2BF36
	v_cmp_lt_u32_e64 s[40:41], v80, v64                        // 000000005EF4: D0C90028 00028150
	v_add_u32_e32 v80, 64, v80                                 // 000000005EFC: 68A0A0C0
	s_nop 0                                                    // 000000005F00: BF800000
	v_cndmask_b32_e64 v96, v54, v96, s[40:41]                  // 000000005F04: D1000060 00A2C136
	v_cmp_lt_u32_e64 s[40:41], v81, v64                        // 000000005F0C: D0C90028 00028151
	v_add_u32_e32 v81, 64, v81                                 // 000000005F14: 68A2A2C0
	s_nop 0                                                    // 000000005F18: BF800000
	v_cndmask_b32_e64 v97, v54, v97, s[40:41]                  // 000000005F1C: D1000061 00A2C336
	v_cmp_lt_u32_e64 s[40:41], v82, v64                        // 000000005F24: D0C90028 00028152
	v_add_u32_e32 v82, 64, v82                                 // 000000005F2C: 68A4A4C0
	s_nop 0                                                    // 000000005F30: BF800000
	v_cndmask_b32_e64 v98, v54, v98, s[40:41]                  // 000000005F34: D1000062 00A2C536
	v_cmp_lt_u32_e64 s[40:41], v83, v64                        // 000000005F3C: D0C90028 00028153
	v_add_u32_e32 v83, 64, v83                                 // 000000005F44: 68A6A6C0
	s_nop 0                                                    // 000000005F48: BF800000
	v_cndmask_b32_e64 v99, v54, v99, s[40:41]                  // 000000005F4C: D1000063 00A2C736
	v_cmp_lt_u32_e64 s[40:41], v80, v64                        // 000000005F54: D0C90028 00028150
	v_add_u32_e32 v80, 64, v80                                 // 000000005F5C: 68A0A0C0
	s_nop 0                                                    // 000000005F60: BF800000
	v_cndmask_b32_e64 v100, v54, v100, s[40:41]                // 000000005F64: D1000064 00A2C936
	v_cmp_lt_u32_e64 s[40:41], v81, v64                        // 000000005F6C: D0C90028 00028151
	v_add_u32_e32 v81, 64, v81                                 // 000000005F74: 68A2A2C0
	s_nop 0                                                    // 000000005F78: BF800000
	v_cndmask_b32_e64 v101, v54, v101, s[40:41]                // 000000005F7C: D1000065 00A2CB36
	v_cmp_lt_u32_e64 s[40:41], v82, v64                        // 000000005F84: D0C90028 00028152
	v_add_u32_e32 v82, 64, v82                                 // 000000005F8C: 68A4A4C0
	s_nop 0                                                    // 000000005F90: BF800000
	v_cndmask_b32_e64 v102, v54, v102, s[40:41]                // 000000005F94: D1000066 00A2CD36
	v_cmp_lt_u32_e64 s[40:41], v83, v64                        // 000000005F9C: D0C90028 00028153
	v_add_u32_e32 v83, 64, v83                                 // 000000005FA4: 68A6A6C0
	s_nop 0                                                    // 000000005FA8: BF800000
	v_cndmask_b32_e64 v103, v54, v103, s[40:41]                // 000000005FAC: D1000067 00A2CF36
	v_mov_b32_e32 v50, v88                                     // 000000005FB4: 7E640358
	v_max3_f32 v50, v88, v89, v50                              // 000000005FB8: D1D30032 04CAB358
	v_max3_f32 v50, v90, v91, v50                              // 000000005FC0: D1D30032 04CAB75A
	v_max3_f32 v50, v92, v93, v50                              // 000000005FC8: D1D30032 04CABB5C
	v_max3_f32 v50, v94, v95, v50                              // 000000005FD0: D1D30032 04CABF5E
	v_max3_f32 v50, v96, v97, v50                              // 000000005FD8: D1D30032 04CAC360
	v_max3_f32 v50, v98, v99, v50                              // 000000005FE0: D1D30032 04CAC762
	v_max3_f32 v50, v100, v101, v50                            // 000000005FE8: D1D30032 04CACB64
	v_max3_f32 v50, v102, v103, v50                            // 000000005FF0: D1D30032 04CACF66
	ds_write_b32 v11, v50 offset:4224                          // 000000005FF8: D81A1080 0000320B
	v_mul_u32_u24_dpp v38, v16, v53 row_newbcast:1 row_mask:0xf bank_mask:0xf// 000000006000: 104C6AFA FF015110
	v_mul_u32_u24_dpp v39, v16, v53 row_newbcast:5 row_mask:0xf bank_mask:0xf// 000000006008: 104E6AFA FF015510
	v_mul_u32_u24_dpp v40, v16, v53 row_newbcast:9 row_mask:0xf bank_mask:0xf// 000000006010: 10506AFA FF015910
	v_mul_u32_u24_dpp v41, v16, v53 row_newbcast:13 row_mask:0xf bank_mask:0xf// 000000006018: 10526AFA FF015D10
	v_add_u32_e32 v30, v38, v7                                 // 000000006020: 683C0F26
	v_add_u32_e32 v31, v39, v7                                 // 000000006024: 683E0F27
	v_add_u32_e32 v32, v40, v7                                 // 000000006028: 68400F28
	v_add_u32_e32 v33, v41, v7                                 // 00000000602C: 68420F29
	s_waitcnt lgkmcnt(0)                                       // 000000006030: BF8CC07F
	s_barrier                                                  // 000000006034: BF8A0000
	ds_read_b32 v64, v10 offset:4224                           // 000000006038: D86C1080 4000000A
	ds_read_b32 v65, v10 offset:4288                           // 000000006040: D86C10C0 4100000A
	ds_read_b32 v66, v10 offset:4352                           // 000000006048: D86C1100 4200000A
	ds_read_b32 v67, v10 offset:4416                           // 000000006050: D86C1140 4300000A
	ds_read_b32 v68, v10 offset:4480                           // 000000006058: D86C1180 4400000A
	ds_read_b32 v69, v10 offset:4544                           // 000000006060: D86C11C0 4500000A
	ds_read_b32 v70, v10 offset:4608                           // 000000006068: D86C1200 4600000A
	ds_read_b32 v71, v10 offset:4672                           // 000000006070: D86C1240 4700000A
	ds_read_b32 v72, v10 offset:4736                           // 000000006078: D86C1280 4800000A
	ds_read_b32 v73, v10 offset:4800                           // 000000006080: D86C12C0 4900000A
	ds_read_b32 v74, v10 offset:4864                           // 000000006088: D86C1300 4A00000A
	ds_read_b32 v75, v10 offset:4928                           // 000000006090: D86C1340 4B00000A
	ds_read_b32 v76, v10 offset:4992                           // 000000006098: D86C1380 4C00000A
	ds_read_b32 v77, v10 offset:5056                           // 0000000060A0: D86C13C0 4D00000A
	ds_read_b32 v78, v10 offset:5120                           // 0000000060A8: D86C1400 4E00000A
	ds_read_b32 v79, v10 offset:5184                           // 0000000060B0: D86C1440 4F00000A
	v_mul_f32_e32 v112, v51, v112                              // 0000000060B8: 0AE0E133
	v_mul_f32_e32 v113, v51, v113                              // 0000000060BC: 0AE2E333
	v_mul_f32_e32 v114, v51, v114                              // 0000000060C0: 0AE4E533
	v_mul_f32_e32 v115, v51, v115                              // 0000000060C4: 0AE6E733
	v_mul_f32_e32 v116, v51, v116                              // 0000000060C8: 0AE8E933
	v_mul_f32_e32 v117, v51, v117                              // 0000000060CC: 0AEAEB33
	v_mul_f32_e32 v118, v51, v118                              // 0000000060D0: 0AECED33
	v_mul_f32_e32 v119, v51, v119                              // 0000000060D4: 0AEEEF33
	s_waitcnt lgkmcnt(0)                                       // 0000000060D8: BF8CC07F
	v_max3_f32 v50, v64, v65, v50                              // 0000000060DC: D1D30032 04CA8340
	v_max3_f32 v50, v66, v67, v50                              // 0000000060E4: D1D30032 04CA8742
	v_max3_f32 v50, v68, v69, v50                              // 0000000060EC: D1D30032 04CA8B44
	v_max3_f32 v50, v70, v71, v50                              // 0000000060F4: D1D30032 04CA8F46
	v_max3_f32 v50, v72, v73, v50                              // 0000000060FC: D1D30032 04CA9348
	v_max3_f32 v50, v74, v75, v50                              // 000000006104: D1D30032 04CA974A
	v_max3_f32 v50, v76, v77, v50                              // 00000000610C: D1D30032 04CA9B4C
	v_max3_f32 v50, v78, v79, v50                              // 000000006114: D1D30032 04CA9F4E
	v_cmp_eq_u32_e64 s[40:41], v54, v14                        // 00000000611C: D0CA0028 00021D36
	s_nop 1                                                    // 000000006124: BF800001
	v_max_f32_e32 v15, v50, v14                                // 000000006128: 161E1D32
	v_mul_f32_e32 v52, s64, v15                                // 00000000612C: 0A681E40
	v_fma_f32 v88, v88, s64, -v52                              // 000000006130: D1CB0058 84D08158
	v_fma_f32 v89, v89, s64, -v52                              // 000000006138: D1CB0059 84D08159
	v_fma_f32 v90, v90, s64, -v52                              // 000000006140: D1CB005A 84D0815A
	v_fma_f32 v91, v91, s64, -v52                              // 000000006148: D1CB005B 84D0815B
	v_fma_f32 v92, v92, s64, -v52                              // 000000006150: D1CB005C 84D0815C
	v_fma_f32 v93, v93, s64, -v52                              // 000000006158: D1CB005D 84D0815D
	v_fma_f32 v94, v94, s64, -v52                              // 000000006160: D1CB005E 84D0815E
	v_fma_f32 v95, v95, s64, -v52                              // 000000006168: D1CB005F 84D0815F
	v_fma_f32 v96, v96, s64, -v52                              // 000000006170: D1CB0060 84D08160
	v_fma_f32 v97, v97, s64, -v52                              // 000000006178: D1CB0061 84D08161
	v_fma_f32 v98, v98, s64, -v52                              // 000000006180: D1CB0062 84D08162
	v_fma_f32 v99, v99, s64, -v52                              // 000000006188: D1CB0063 84D08163
	v_fma_f32 v100, v100, s64, -v52                            // 000000006190: D1CB0064 84D08164
	v_fma_f32 v101, v101, s64, -v52                            // 000000006198: D1CB0065 84D08165
	v_fma_f32 v102, v102, s64, -v52                            // 0000000061A0: D1CB0066 84D08166
	v_fma_f32 v103, v103, s64, -v52                            // 0000000061A8: D1CB0067 84D08167
	v_exp_f32_e32 v88, v88                                     // 0000000061B0: 7EB04158
	v_exp_f32_e32 v89, v89                                     // 0000000061B4: 7EB24159
	v_exp_f32_e32 v90, v90                                     // 0000000061B8: 7EB4415A
	v_exp_f32_e32 v91, v91                                     // 0000000061BC: 7EB6415B
	v_exp_f32_e32 v92, v92                                     // 0000000061C0: 7EB8415C
	v_exp_f32_e32 v93, v93                                     // 0000000061C4: 7EBA415D
	v_exp_f32_e32 v94, v94                                     // 0000000061C8: 7EBC415E
	v_exp_f32_e32 v95, v95                                     // 0000000061CC: 7EBE415F
	v_exp_f32_e32 v96, v96                                     // 0000000061D0: 7EC04160
	v_exp_f32_e32 v97, v97                                     // 0000000061D4: 7EC24161
	v_exp_f32_e32 v98, v98                                     // 0000000061D8: 7EC44162
	v_exp_f32_e32 v99, v99                                     // 0000000061DC: 7EC64163
	v_exp_f32_e32 v100, v100                                   // 0000000061E0: 7EC84164
	v_exp_f32_e32 v101, v101                                   // 0000000061E4: 7ECA4165
	v_exp_f32_e32 v102, v102                                   // 0000000061E8: 7ECC4166
	v_exp_f32_e32 v103, v103                                   // 0000000061EC: 7ECE4167
	v_mul_f32_dpp v160, v124, v88 quad_perm:[0,0,0,0] row_mask:0xf bank_mask:0xf// 0000000061F0: 0B40B0FA FF00007C
	v_mul_f32_dpp v161, v124, v89 quad_perm:[1,1,1,1] row_mask:0xf bank_mask:0xf// 0000000061F8: 0B42B2FA FF00557C
	v_mul_f32_dpp v162, v124, v90 quad_perm:[2,2,2,2] row_mask:0xf bank_mask:0xf// 000000006200: 0B44B4FA FF00AA7C
	v_mul_f32_dpp v163, v124, v91 quad_perm:[3,3,3,3] row_mask:0xf bank_mask:0xf// 000000006208: 0B46B6FA FF00FF7C
	v_mul_f32_dpp v164, v125, v92 quad_perm:[0,0,0,0] row_mask:0xf bank_mask:0xf// 000000006210: 0B48B8FA FF00007D
	v_mul_f32_dpp v165, v125, v93 quad_perm:[1,1,1,1] row_mask:0xf bank_mask:0xf// 000000006218: 0B4ABAFA FF00557D
	v_mul_f32_dpp v166, v125, v94 quad_perm:[2,2,2,2] row_mask:0xf bank_mask:0xf// 000000006220: 0B4CBCFA FF00AA7D
	v_mul_f32_dpp v167, v125, v95 quad_perm:[3,3,3,3] row_mask:0xf bank_mask:0xf// 000000006228: 0B4EBEFA FF00FF7D
	v_mul_f32_dpp v168, v126, v96 quad_perm:[0,0,0,0] row_mask:0xf bank_mask:0xf// 000000006230: 0B50C0FA FF00007E
	v_mul_f32_dpp v169, v126, v97 quad_perm:[1,1,1,1] row_mask:0xf bank_mask:0xf// 000000006238: 0B52C2FA FF00557E
	v_mul_f32_dpp v170, v126, v98 quad_perm:[2,2,2,2] row_mask:0xf bank_mask:0xf// 000000006240: 0B54C4FA FF00AA7E
	v_mul_f32_dpp v171, v126, v99 quad_perm:[3,3,3,3] row_mask:0xf bank_mask:0xf// 000000006248: 0B56C6FA FF00FF7E
	v_mul_f32_dpp v172, v127, v100 quad_perm:[0,0,0,0] row_mask:0xf bank_mask:0xf// 000000006250: 0B58C8FA FF00007F
	v_mul_f32_dpp v173, v127, v101 quad_perm:[1,1,1,1] row_mask:0xf bank_mask:0xf// 000000006258: 0B5ACAFA FF00557F
	v_mul_f32_dpp v174, v127, v102 quad_perm:[2,2,2,2] row_mask:0xf bank_mask:0xf// 000000006260: 0B5CCCFA FF00AA7F
	v_mul_f32_dpp v175, v127, v103 quad_perm:[3,3,3,3] row_mask:0xf bank_mask:0xf// 000000006268: 0B5ECEFA FF00FF7F
	v_mov_b32_e32 v50, 0x358637bd                              // 000000006270: 7E6402FF 358637BD
	v_max3_f32 v50, |v160|, |v161|, v50                        // 000000006278: D1D30332 04CB43A0
	v_max3_f32 v50, |v162|, |v163|, v50                        // 000000006280: D1D30332 04CB47A2
	v_max3_f32 v50, |v164|, |v165|, v50                        // 000000006288: D1D30332 04CB4BA4
	v_max3_f32 v50, |v166|, |v167|, v50                        // 000000006290: D1D30332 04CB4FA6
	v_max3_f32 v50, |v168|, |v169|, v50                        // 000000006298: D1D30332 04CB53A8
	v_max3_f32 v50, |v170|, |v171|, v50                        // 0000000062A0: D1D30332 04CB57AA
	v_max3_f32 v50, |v172|, |v173|, v50                        // 0000000062A8: D1D30332 04CB5BAC
	v_max3_f32 v50, |v174|, |v175|, v50                        // 0000000062B0: D1D30332 04CB5FAE
	ds_write_b32 v11, v50 offset:5248                          // 0000000062B8: D81A1480 0000320B
	v_sub_f32_e32 v51, v14, v15                                // 0000000062C0: 04661F0E
	v_cndmask_b32_e64 v51, v51, 0, s[40:41]                    // 0000000062C4: D1000033 00A10133
	v_mov_b32_e32 v14, v15                                     // 0000000062CC: 7E1C030F
	v_mul_f32_e32 v51, s64, v51                                // 0000000062D0: 0A666640
	v_exp_f32_e32 v51, v51                                     // 0000000062D4: 7E664133
	s_waitcnt lgkmcnt(0)                                       // 0000000062D8: BF8CC07F
	s_barrier                                                  // 0000000062DC: BF8A0000
	ds_read_b32 v64, v10 offset:5248                           // 0000000062E0: D86C1480 4000000A
	ds_read_b32 v65, v10 offset:5312                           // 0000000062E8: D86C14C0 4100000A
	ds_read_b32 v66, v10 offset:5376                           // 0000000062F0: D86C1500 4200000A
	ds_read_b32 v67, v10 offset:5440                           // 0000000062F8: D86C1540 4300000A
	ds_read_b32 v68, v10 offset:5504                           // 000000006300: D86C1580 4400000A
	ds_read_b32 v69, v10 offset:5568                           // 000000006308: D86C15C0 4500000A
	ds_read_b32 v70, v10 offset:5632                           // 000000006310: D86C1600 4600000A
	ds_read_b32 v71, v10 offset:5696                           // 000000006318: D86C1640 4700000A
	ds_read_b32 v72, v10 offset:5760                           // 000000006320: D86C1680 4800000A
	ds_read_b32 v73, v10 offset:5824                           // 000000006328: D86C16C0 4900000A
	ds_read_b32 v74, v10 offset:5888                           // 000000006330: D86C1700 4A00000A
	ds_read_b32 v75, v10 offset:5952                           // 000000006338: D86C1740 4B00000A
	ds_read_b32 v76, v10 offset:6016                           // 000000006340: D86C1780 4C00000A
	ds_read_b32 v77, v10 offset:6080                           // 000000006348: D86C17C0 4D00000A
	ds_read_b32 v78, v10 offset:6144                           // 000000006350: D86C1800 4E00000A
	ds_read_b32 v79, v10 offset:6208                           // 000000006358: D86C1840 4F00000A
	v_mul_f32_e32 v44, v51, v44                                // 000000006360: 0A585933
	v_mov_b32_e32 v45, v88                                     // 000000006364: 7E5A0358
	v_add_f32_e32 v45, v89, v45                                // 000000006368: 025A5B59
	v_add_f32_e32 v45, v90, v45                                // 00000000636C: 025A5B5A
	v_add_f32_e32 v45, v91, v45                                // 000000006370: 025A5B5B
	v_add_f32_e32 v45, v92, v45                                // 000000006374: 025A5B5C
	v_add_f32_e32 v45, v93, v45                                // 000000006378: 025A5B5D
	v_add_f32_e32 v45, v94, v45                                // 00000000637C: 025A5B5E
	v_add_f32_e32 v45, v95, v45                                // 000000006380: 025A5B5F
	v_add_f32_e32 v45, v96, v45                                // 000000006384: 025A5B60
	v_add_f32_e32 v45, v97, v45                                // 000000006388: 025A5B61
	v_add_f32_e32 v45, v98, v45                                // 00000000638C: 025A5B62
	v_add_f32_e32 v45, v99, v45                                // 000000006390: 025A5B63
	v_add_f32_e32 v45, v100, v45                               // 000000006394: 025A5B64
	v_add_f32_e32 v45, v101, v45                               // 000000006398: 025A5B65
	v_add_f32_e32 v45, v102, v45                               // 00000000639C: 025A5B66
	v_add_f32_e32 v45, v103, v45                               // 0000000063A0: 025A5B67
	v_add_f32_e32 v44, v45, v44                                // 0000000063A4: 0258592D
	s_waitcnt lgkmcnt(0)                                       // 0000000063A8: BF8CC07F
	v_max3_f32 v50, |v64|, |v65|, v50                          // 0000000063AC: D1D30332 04CA8340
	v_max3_f32 v50, |v66|, |v67|, v50                          // 0000000063B4: D1D30332 04CA8742
	v_max3_f32 v50, |v68|, |v69|, v50                          // 0000000063BC: D1D30332 04CA8B44
	v_max3_f32 v50, |v70|, |v71|, v50                          // 0000000063C4: D1D30332 04CA8F46
	v_max3_f32 v50, |v72|, |v73|, v50                          // 0000000063CC: D1D30332 04CA9348
	v_max3_f32 v50, |v74|, |v75|, v50                          // 0000000063D4: D1D30332 04CA974A
	v_max3_f32 v50, |v76|, |v77|, v50                          // 0000000063DC: D1D30332 04CA9B4C
	v_max3_f32 v50, |v78|, |v79|, v50                          // 0000000063E4: D1D30332 04CA9F4E
	s_nop 2                                                    // 0000000063EC: BF800002
	v_rcp_f32_e32 v50, v50                                     // 0000000063F0: 7E644532
	s_nop 1                                                    // 0000000063F4: BF800001
	v_mul_f32_e32 v50, 0x42fe0000, v50                         // 0000000063F8: 0A6464FF 42FE0000
	v_mul_f32_e32 v88, v50, v160                               // 000000006400: 0AB14132
	v_mul_f32_e32 v89, v50, v161                               // 000000006404: 0AB34332
	v_mul_f32_e32 v90, v50, v162                               // 000000006408: 0AB54532
	v_mul_f32_e32 v91, v50, v163                               // 00000000640C: 0AB74732
	v_mul_f32_e32 v92, v50, v164                               // 000000006410: 0AB94932
	v_mul_f32_e32 v93, v50, v165                               // 000000006414: 0ABB4B32
	v_mul_f32_e32 v94, v50, v166                               // 000000006418: 0ABD4D32
	v_mul_f32_e32 v95, v50, v167                               // 00000000641C: 0ABF4F32
	v_mul_f32_e32 v96, v50, v168                               // 000000006420: 0AC15132
	v_mul_f32_e32 v97, v50, v169                               // 000000006424: 0AC35332
	v_mul_f32_e32 v98, v50, v170                               // 000000006428: 0AC55532
	v_mul_f32_e32 v99, v50, v171                               // 00000000642C: 0AC75732
	v_mul_f32_e32 v100, v50, v172                              // 000000006430: 0AC95932
	v_mul_f32_e32 v101, v50, v173                              // 000000006434: 0ACB5B32
	v_mul_f32_e32 v102, v50, v174                              // 000000006438: 0ACD5D32
	v_mul_f32_e32 v103, v50, v175                              // 00000000643C: 0ACF5F32
	v_cvt_i32_f32_e32 v88, v88                                 // 000000006440: 7EB01158
	v_cvt_i32_f32_e32 v89, v89                                 // 000000006444: 7EB21159
	v_cvt_i32_f32_e32 v90, v90                                 // 000000006448: 7EB4115A
	v_cvt_i32_f32_e32 v91, v91                                 // 00000000644C: 7EB6115B
	v_cvt_i32_f32_e32 v92, v92                                 // 000000006450: 7EB8115C
	v_cvt_i32_f32_e32 v93, v93                                 // 000000006454: 7EBA115D
	v_cvt_i32_f32_e32 v94, v94                                 // 000000006458: 7EBC115E
	v_cvt_i32_f32_e32 v95, v95                                 // 00000000645C: 7EBE115F
	v_cvt_i32_f32_e32 v96, v96                                 // 000000006460: 7EC01160
	v_cvt_i32_f32_e32 v97, v97                                 // 000000006464: 7EC21161
	v_cvt_i32_f32_e32 v98, v98                                 // 000000006468: 7EC41162
	v_cvt_i32_f32_e32 v99, v99                                 // 00000000646C: 7EC61163
	v_cvt_i32_f32_e32 v100, v100                               // 000000006470: 7EC81164
	v_cvt_i32_f32_e32 v101, v101                               // 000000006474: 7ECA1165
	v_cvt_i32_f32_e32 v102, v102                               // 000000006478: 7ECC1166
	v_cvt_i32_f32_e32 v103, v103                               // 00000000647C: 7ECE1167
	v_perm_b32 v88, v89, v88, s53                              // 000000006480: D1ED0058 00D6B159
	v_perm_b32 v88, v90, v88, s54                              // 000000006488: D1ED0058 00DAB15A
	v_perm_b32 v88, v91, v88, s55                              // 000000006490: D1ED0058 00DEB15B
	v_perm_b32 v89, v93, v92, s53                              // 000000006498: D1ED0059 00D6B95D
	v_perm_b32 v89, v94, v89, s54                              // 0000000064A0: D1ED0059 00DAB35E
	v_perm_b32 v89, v95, v89, s55                              // 0000000064A8: D1ED0059 00DEB35F
	v_perm_b32 v90, v97, v96, s53                              // 0000000064B0: D1ED005A 00D6C161
	v_perm_b32 v90, v98, v90, s54                              // 0000000064B8: D1ED005A 00DAB562
	v_perm_b32 v90, v99, v90, s55                              // 0000000064C0: D1ED005A 00DEB563
	v_perm_b32 v91, v101, v100, s53                            // 0000000064C8: D1ED005B 00D6C965
	v_perm_b32 v91, v102, v91, s54                             // 0000000064D0: D1ED005B 00DAB766
	v_perm_b32 v91, v103, v91, s55                             // 0000000064D8: D1ED005B 00DEB767
	ds_write_b32 v13, v88 offset:6272                          // 0000000064E0: D81A1880 0000580D
	ds_write_b32 v13, v89 offset:7296                          // 0000000064E8: D81A1C80 0000590D
	ds_write_b32 v13, v90 offset:8320                          // 0000000064F0: D81A2080 00005A0D
	ds_write_b32 v13, v91 offset:9344                          // 0000000064F8: D81A2480 00005B0D
	v_cvt_f32_i32_e32 v104, v104                               // 000000006500: 7ED00B68
	v_cvt_f32_i32_e32 v105, v105                               // 000000006504: 7ED20B69
	v_cvt_f32_i32_e32 v106, v106                               // 000000006508: 7ED40B6A
	v_cvt_f32_i32_e32 v107, v107                               // 00000000650C: 7ED60B6B
	v_cvt_f32_i32_e32 v108, v108                               // 000000006510: 7ED80B6C
	v_cvt_f32_i32_e32 v109, v109                               // 000000006514: 7EDA0B6D
	v_cvt_f32_i32_e32 v110, v110                               // 000000006518: 7EDC0B6E
	v_cvt_f32_i32_e32 v111, v111                               // 00000000651C: 7EDE0B6F
	v_mul_f32_e32 v104, v49, v104                              // 000000006520: 0AD0D131
	v_mul_f32_e32 v105, v49, v105                              // 000000006524: 0AD2D331
	v_mul_f32_e32 v106, v49, v106                              // 000000006528: 0AD4D531
	v_mul_f32_e32 v107, v49, v107                              // 00000000652C: 0AD6D731
	v_mul_f32_e32 v108, v49, v108                              // 000000006530: 0AD8D931
	v_mul_f32_e32 v109, v49, v109                              // 000000006534: 0ADADB31
	v_mul_f32_e32 v110, v49, v110                              // 000000006538: 0ADCDD31
	v_mul_f32_e32 v111, v49, v111                              // 00000000653C: 0ADEDF31
	v_rcp_f32_e32 v49, v50                                     // 000000006540: 7E624532
	s_waitcnt lgkmcnt(0)                                       // 000000006544: BF8CC07F
	s_barrier                                                  // 000000006548: BF8A0000
	ds_read_b64 v[88:89], v12 offset:6272                      // 00000000654C: D8EC1880 5800000C
	ds_read_b64 v[90:91], v12 offset:6400                      // 000000006554: D8EC1900 5A00000C
	ds_read_b64 v[92:93], v12 offset:7296                      // 00000000655C: D8EC1C80 5C00000C
	ds_read_b64 v[94:95], v12 offset:7424                      // 000000006564: D8EC1D00 5E00000C
	ds_read_b64 v[96:97], v12 offset:8320                      // 00000000656C: D8EC2080 6000000C
	ds_read_b64 v[98:99], v12 offset:8448                      // 000000006574: D8EC2100 6200000C
	ds_read_b64 v[100:101], v12 offset:9344                    // 00000000657C: D8EC2480 6400000C
	ds_read_b64 v[102:103], v12 offset:9472                    // 000000006584: D8EC2500 6600000C
	v_add_f32_e32 v112, v112, v104                             // 00000000658C: 02E0D170
	v_add_f32_e32 v113, v113, v105                             // 000000006590: 02E2D371
	v_add_f32_e32 v114, v114, v106                             // 000000006594: 02E4D572
	v_add_f32_e32 v115, v115, v107                             // 000000006598: 02E6D773
	v_add_f32_e32 v116, v116, v108                             // 00000000659C: 02E8D974
	v_add_f32_e32 v117, v117, v109                             // 0000000065A0: 02EADB75
	v_add_f32_e32 v118, v118, v110                             // 0000000065A4: 02ECDD76
	v_add_f32_e32 v119, v119, v111                             // 0000000065A8: 02EEDF77
	s_waitcnt vmcnt(0)                                         // 0000000065AC: BF8C0F70
	s_barrier                                                  // 0000000065B0: BF8A0000
	v_mfma_i32_16x16x32_i8 v[104:107], v[224:225], v[88:89], 0 // 0000000065B4: D3D70068 0202B1E0
	v_mfma_i32_16x16x32_i8 v[104:107], v[226:227], v[90:91], v[104:107]// 0000000065BC: D3D70068 05A2B5E2
	v_mfma_i32_16x16x32_i8 v[104:107], v[228:229], v[92:93], v[104:107]// 0000000065C4: D3D70068 05A2B9E4
	v_mfma_i32_16x16x32_i8 v[104:107], v[230:231], v[94:95], v[104:107]// 0000000065CC: D3D70068 05A2BDE6
	v_mfma_i32_16x16x32_i8 v[104:107], v[232:233], v[96:97], v[104:107]// 0000000065D4: D3D70068 05A2C1E8
	v_mfma_i32_16x16x32_i8 v[104:107], v[234:235], v[98:99], v[104:107]// 0000000065DC: D3D70068 05A2C5EA
	v_mfma_i32_16x16x32_i8 v[104:107], v[236:237], v[100:101], v[104:107]// 0000000065E4: D3D70068 05A2C9EC
	v_mfma_i32_16x16x32_i8 v[104:107], v[238:239], v[102:103], v[104:107]// 0000000065EC: D3D70068 05A2CDEE
	v_mfma_i32_16x16x32_i8 v[108:111], v[240:241], v[88:89], 0 // 0000000065F4: D3D7006C 0202B1F0
	v_mfma_i32_16x16x32_i8 v[108:111], v[242:243], v[90:91], v[108:111]// 0000000065FC: D3D7006C 05B2B5F2
	v_mfma_i32_16x16x32_i8 v[108:111], v[244:245], v[92:93], v[108:111]// 000000006604: D3D7006C 05B2B9F4
	v_mfma_i32_16x16x32_i8 v[108:111], v[246:247], v[94:95], v[108:111]// 00000000660C: D3D7006C 05B2BDF6
	v_mfma_i32_16x16x32_i8 v[108:111], v[248:249], v[96:97], v[108:111]// 000000006614: D3D7006C 05B2C1F8
	v_mfma_i32_16x16x32_i8 v[108:111], v[250:251], v[98:99], v[108:111]// 00000000661C: D3D7006C 05B2C5FA
	v_mfma_i32_16x16x32_i8 v[108:111], v[252:253], v[100:101], v[108:111]// 000000006624: D3D7006C 05B2C9FC
	v_mfma_i32_16x16x32_i8 v[108:111], v[254:255], v[102:103], v[108:111]// 00000000662C: D3D7006C 05B2CDFE
	s_nop 4                                                    // 000000006634: BF800004
	s_branch label_114F                                        // 000000006638: BF820000

000000000000663c <label_114F>:
	v_mul_f32_e32 v112, v51, v112                              // 00000000663C: 0AE0E133
	v_mul_f32_e32 v113, v51, v113                              // 000000006640: 0AE2E333
	v_mul_f32_e32 v114, v51, v114                              // 000000006644: 0AE4E533
	v_mul_f32_e32 v115, v51, v115                              // 000000006648: 0AE6E733
	v_mul_f32_e32 v116, v51, v116                              // 00000000664C: 0AE8E933
	v_mul_f32_e32 v117, v51, v117                              // 000000006650: 0AEAEB33
	v_mul_f32_e32 v118, v51, v118                              // 000000006654: 0AECED33
	v_mul_f32_e32 v119, v51, v119                              // 000000006658: 0AEEEF33
	v_cvt_f32_i32_e32 v104, v104                               // 00000000665C: 7ED00B68
	v_cvt_f32_i32_e32 v105, v105                               // 000000006660: 7ED20B69
	v_cvt_f32_i32_e32 v106, v106                               // 000000006664: 7ED40B6A
	v_cvt_f32_i32_e32 v107, v107                               // 000000006668: 7ED60B6B
	v_cvt_f32_i32_e32 v108, v108                               // 00000000666C: 7ED80B6C
	v_cvt_f32_i32_e32 v109, v109                               // 000000006670: 7EDA0B6D
	v_cvt_f32_i32_e32 v110, v110                               // 000000006674: 7EDC0B6E
	v_cvt_f32_i32_e32 v111, v111                               // 000000006678: 7EDE0B6F
	v_mul_f32_e32 v104, v49, v104                              // 00000000667C: 0AD0D131
	v_mul_f32_e32 v105, v49, v105                              // 000000006680: 0AD2D331
	v_mul_f32_e32 v106, v49, v106                              // 000000006684: 0AD4D531
	v_mul_f32_e32 v107, v49, v107                              // 000000006688: 0AD6D731
	v_mul_f32_e32 v108, v49, v108                              // 00000000668C: 0AD8D931
	v_mul_f32_e32 v109, v49, v109                              // 000000006690: 0ADADB31
	v_mul_f32_e32 v110, v49, v110                              // 000000006694: 0ADCDD31
	v_mul_f32_e32 v111, v49, v111                              // 000000006698: 0ADEDF31
	v_add_f32_e32 v112, v112, v104                             // 00000000669C: 02E0D170
	v_add_f32_e32 v113, v113, v105                             // 0000000066A0: 02E2D371
	v_add_f32_e32 v114, v114, v106                             // 0000000066A4: 02E4D572
	v_add_f32_e32 v115, v115, v107                             // 0000000066A8: 02E6D773
	v_add_f32_e32 v116, v116, v108                             // 0000000066AC: 02E8D974
	v_add_f32_e32 v117, v117, v109                             // 0000000066B0: 02EADB75
	v_add_f32_e32 v118, v118, v110                             // 0000000066B4: 02ECDD76
	v_add_f32_e32 v119, v119, v111                             // 0000000066B8: 02EEDF77
	ds_write_b32 v11, v44 offset:4224                          // 0000000066BC: D81A1080 00002C0B
	s_waitcnt lgkmcnt(0)                                       // 0000000066C4: BF8CC07F
	s_barrier                                                  // 0000000066C8: BF8A0000
	ds_read_b32 v64, v10 offset:4224                           // 0000000066CC: D86C1080 4000000A
	ds_read_b32 v65, v10 offset:4288                           // 0000000066D4: D86C10C0 4100000A
	ds_read_b32 v66, v10 offset:4352                           // 0000000066DC: D86C1100 4200000A
	ds_read_b32 v67, v10 offset:4416                           // 0000000066E4: D86C1140 4300000A
	ds_read_b32 v68, v10 offset:4480                           // 0000000066EC: D86C1180 4400000A
	ds_read_b32 v69, v10 offset:4544                           // 0000000066F4: D86C11C0 4500000A
	ds_read_b32 v70, v10 offset:4608                           // 0000000066FC: D86C1200 4600000A
	ds_read_b32 v71, v10 offset:4672                           // 000000006704: D86C1240 4700000A
	ds_read_b32 v72, v10 offset:4736                           // 00000000670C: D86C1280 4800000A
	ds_read_b32 v73, v10 offset:4800                           // 000000006714: D86C12C0 4900000A
	ds_read_b32 v74, v10 offset:4864                           // 00000000671C: D86C1300 4A00000A
	ds_read_b32 v75, v10 offset:4928                           // 000000006724: D86C1340 4B00000A
	ds_read_b32 v76, v10 offset:4992                           // 00000000672C: D86C1380 4C00000A
	ds_read_b32 v77, v10 offset:5056                           // 000000006734: D86C13C0 4D00000A
	ds_read_b32 v78, v10 offset:5120                           // 00000000673C: D86C1400 4E00000A
	ds_read_b32 v79, v10 offset:5184                           // 000000006744: D86C1440 4F00000A
	s_waitcnt lgkmcnt(0)                                       // 00000000674C: BF8CC07F
	v_mov_b32_e32 v44, 0                                       // 000000006750: 7E580280
	v_add_f32_e32 v44, v64, v44                                // 000000006754: 02585940
	v_add_f32_e32 v44, v65, v44                                // 000000006758: 02585941
	v_add_f32_e32 v44, v66, v44                                // 00000000675C: 02585942
	v_add_f32_e32 v44, v67, v44                                // 000000006760: 02585943
	v_add_f32_e32 v44, v68, v44                                // 000000006764: 02585944
	;; [unrolled: 1-line block ×3, first 2 shown]
	v_add_f32_e32 v44, v70, v44                                // 00000000676C: 02585946
	v_add_f32_e32 v44, v71, v44                                // 000000006770: 02585947
	v_add_f32_e32 v44, v72, v44                                // 000000006774: 02585948
	;; [unrolled: 1-line block ×3, first 2 shown]
	v_add_f32_e32 v44, v74, v44                                // 00000000677C: 0258594A
	v_add_f32_e32 v44, v75, v44                                // 000000006780: 0258594B
	v_add_f32_e32 v44, v76, v44                                // 000000006784: 0258594C
	v_add_f32_e32 v44, v77, v44                                // 000000006788: 0258594D
	v_add_f32_e32 v44, v78, v44                                // 00000000678C: 0258594E
	v_add_f32_e32 v44, v79, v44                                // 000000006790: 0258594F
	s_nop 1                                                    // 000000006794: BF800001
	v_rcp_f32_e32 v44, v44                                     // 000000006798: 7E58452C
	s_nop 1                                                    // 00000000679C: BF800001
	v_mul_f32_e32 v112, v44, v112                              // 0000000067A0: 0AE0E12C
	v_mul_f32_e32 v113, v44, v113                              // 0000000067A4: 0AE2E32C
	v_mul_f32_e32 v114, v44, v114                              // 0000000067A8: 0AE4E52C
	v_mul_f32_e32 v115, v44, v115                              // 0000000067AC: 0AE6E72C
	v_mul_f32_e32 v116, v44, v116                              // 0000000067B0: 0AE8E92C
	v_mul_f32_e32 v117, v44, v117                              // 0000000067B4: 0AEAEB2C
	v_mul_f32_e32 v118, v44, v118                              // 0000000067B8: 0AECED2C
	v_mul_f32_e32 v119, v44, v119                              // 0000000067BC: 0AEEEF2C
	v_cvt_pkrtz_f16_f32 v38, v112, v113                        // 0000000067C0: D2960026 0002E370
	v_mov_b32_e32 v112, v38                                    // 0000000067C8: 7EE00326
	v_cvt_pkrtz_f16_f32 v38, v114, v115                        // 0000000067CC: D2960026 0002E772
	v_mov_b32_e32 v113, v38                                    // 0000000067D4: 7EE20326
	v_cvt_pkrtz_f16_f32 v38, v116, v117                        // 0000000067D8: D2960026 0002EB74
	v_mov_b32_e32 v114, v38                                    // 0000000067E0: 7EE40326
	v_cvt_pkrtz_f16_f32 v38, v118, v119                        // 0000000067E4: D2960026 0002EF76
	v_mov_b32_e32 v115, v38                                    // 0000000067EC: 7EE60326
	s_nop 1                                                    // 0000000067F0: BF800001
	v_lshrrev_b32_e32 v38, 4, v0                               // 0000000067F4: 204C0084
	v_mul_i32_i24_e32 v5, 34, v38                              // 0000000067F8: 0C0A4CA2
	v_and_b32_e32 v38, 15, v0                                  // 0000000067FC: 264C008F
	v_mul_i32_i24_e32 v39, 2, v38                              // 000000006800: 0C4E4C82
	v_add_u32_e32 v5, v39, v5                                  // 000000006804: 680A0B27
	s_mul_i32 s60, s7, 0x88                                    // 000000006808: 923CFF07 00000088
	v_add_u32_e32 v5, s60, v5                                  // 000000006810: 680A0A3C
	v_lshlrev_b32_e32 v5, 2, v5                                // 000000006814: 240A0A82
	ds_write_b64 v5, v[112:113] offset:10368                   // 000000006818: D89A2880 00007005
	ds_write_b64 v5, v[114:115] offset:12544                   // 000000006820: D89A3100 00007205
	v_lshrrev_b32_e32 v38, 1, v0                               // 000000006828: 204C0081
	v_mul_i32_i24_e32 v5, 34, v38                              // 00000000682C: 0C0A4CA2
	v_and_b32_e32 v39, 1, v0                                   // 000000006830: 264E0081
	v_add_u32_e32 v5, v39, v5                                  // 000000006834: 680A0B27
	s_mul_i32 s60, s7, 2                                       // 000000006838: 923C8207
	v_add_u32_e32 v5, s60, v5                                  // 00000000683C: 680A0A3C
	v_lshlrev_b32_e32 v5, 2, v5                                // 000000006840: 240A0A82
	s_waitcnt lgkmcnt(0)                                       // 000000006844: BF8CC07F
	s_barrier                                                  // 000000006848: BF8A0000
	ds_read_b32 v112, v5 offset:10368                          // 00000000684C: D86C2880 70000005
	ds_read_b32 v113, v5 offset:10400                          // 000000006854: D86C28A0 71000005
	ds_read_b32 v114, v5 offset:10432                          // 00000000685C: D86C28C0 72000005
	ds_read_b32 v115, v5 offset:10464                          // 000000006864: D86C28E0 73000005
	s_waitcnt lgkmcnt(0)                                       // 00000000686C: BF8CC07F
	buffer_store_dword v112, v8, s[8:11], 0 offen              // 000000006870: E0701000 80027008
	buffer_store_dword v113, v8, s[8:11], 0 offen offset:1024  // 000000006878: E0701400 80027108
	buffer_store_dword v114, v8, s[8:11], 0 offen offset:2048  // 000000006880: E0701800 80027208
	buffer_store_dword v115, v8, s[8:11], 0 offen offset:3072  // 000000006888: E0701C00 80027308
	s_waitcnt vmcnt(0) expcnt(0) lgkmcnt(0)                    // 000000006890: BF8C0000
	s_endpgm                                                   // 000000006894: BF810000
